;; amdgpu-corpus repo=ROCm/rocFFT kind=compiled arch=gfx1201 opt=O3
	.text
	.amdgcn_target "amdgcn-amd-amdhsa--gfx1201"
	.amdhsa_code_object_version 6
	.protected	bluestein_single_back_len1275_dim1_dp_op_CI_CI ; -- Begin function bluestein_single_back_len1275_dim1_dp_op_CI_CI
	.globl	bluestein_single_back_len1275_dim1_dp_op_CI_CI
	.p2align	8
	.type	bluestein_single_back_len1275_dim1_dp_op_CI_CI,@function
bluestein_single_back_len1275_dim1_dp_op_CI_CI: ; @bluestein_single_back_len1275_dim1_dp_op_CI_CI
; %bb.0:
	s_load_b128 s[8:11], s[0:1], 0x28
	v_mul_u32_u24_e32 v1, 0x304, v0
	s_mov_b32 s2, exec_lo
	s_delay_alu instid0(VALU_DEP_1) | instskip(NEXT) | instid1(VALU_DEP_1)
	v_lshrrev_b32_e32 v1, 16, v1
	v_mad_co_u64_u32 v[221:222], null, ttmp9, 3, v[1:2]
	v_mov_b32_e32 v222, 0
                                        ; kill: def $vgpr2 killed $sgpr0 killed $exec
	s_wait_kmcnt 0x0
	s_delay_alu instid0(VALU_DEP_1)
	v_cmpx_gt_u64_e64 s[8:9], v[221:222]
	s_cbranch_execz .LBB0_15
; %bb.1:
	v_mul_hi_u32 v2, 0xaaaaaaab, v221
	s_clause 0x1
	s_load_b64 s[8:9], s[0:1], 0x0
	s_load_b64 s[12:13], s[0:1], 0x38
	v_mul_lo_u16 v1, 0x55, v1
	s_delay_alu instid0(VALU_DEP_1) | instskip(NEXT) | instid1(VALU_DEP_3)
	v_sub_nc_u16 v0, v0, v1
	v_lshrrev_b32_e32 v2, 1, v2
	s_delay_alu instid0(VALU_DEP_2) | instskip(NEXT) | instid1(VALU_DEP_2)
	v_and_b32_e32 v226, 0xffff, v0
	v_lshl_add_u32 v2, v2, 1, v2
	v_cmp_gt_u16_e32 vcc_lo, 0x4b, v0
	s_delay_alu instid0(VALU_DEP_3) | instskip(NEXT) | instid1(VALU_DEP_3)
	v_lshlrev_b32_e32 v255, 4, v226
	v_sub_nc_u32_e32 v1, v221, v2
	s_delay_alu instid0(VALU_DEP_1) | instskip(NEXT) | instid1(VALU_DEP_1)
	v_mul_u32_u24_e32 v204, 0x4fb, v1
	v_lshlrev_b32_e32 v233, 4, v204
	s_and_saveexec_b32 s3, vcc_lo
	s_cbranch_execz .LBB0_3
; %bb.2:
	s_load_b64 s[4:5], s[0:1], 0x18
	s_wait_kmcnt 0x0
	s_load_b128 s[4:7], s[4:5], 0x0
	s_wait_kmcnt 0x0
	v_mad_co_u64_u32 v[16:17], null, s6, v221, 0
	v_mad_co_u64_u32 v[32:33], null, s4, v226, 0
	s_delay_alu instid0(VALU_DEP_1) | instskip(NEXT) | instid1(VALU_DEP_1)
	v_dual_mov_b32 v0, v17 :: v_dual_mov_b32 v1, v33
	v_mad_co_u64_u32 v[2:3], null, s7, v221, v[0:1]
	s_delay_alu instid0(VALU_DEP_1)
	v_mad_co_u64_u32 v[18:19], null, s5, v226, v[1:2]
	v_mov_b32_e32 v17, v2
	s_mul_u64 s[4:5], s[4:5], 0x4b0
	s_clause 0x3
	global_load_b128 v[0:3], v255, s[8:9]
	global_load_b128 v[4:7], v255, s[8:9] offset:1200
	global_load_b128 v[8:11], v255, s[8:9] offset:2400
	global_load_b128 v[12:15], v255, s[8:9] offset:3600
	v_lshlrev_b64_e32 v[34:35], 4, v[16:17]
	v_mov_b32_e32 v33, v18
	s_clause 0x3
	global_load_b128 v[16:19], v255, s[8:9] offset:4800
	global_load_b128 v[20:23], v255, s[8:9] offset:6000
	;; [unrolled: 1-line block ×4, first 2 shown]
	v_add_co_u32 v42, s2, s10, v34
	v_lshlrev_b64_e32 v[40:41], 4, v[32:33]
	v_add_co_ci_u32_e64 v43, s2, s11, v35, s2
	s_clause 0x1
	global_load_b128 v[32:35], v255, s[8:9] offset:9600
	global_load_b128 v[36:39], v255, s[8:9] offset:10800
	v_add_co_u32 v56, s2, v42, v40
	s_wait_alu 0xf1ff
	v_add_co_ci_u32_e64 v57, s2, v43, v41, s2
	s_clause 0x1
	global_load_b128 v[40:43], v255, s[8:9] offset:12000
	global_load_b128 v[44:47], v255, s[8:9] offset:13200
	s_wait_alu 0xfffe
	v_add_co_u32 v60, s2, v56, s4
	s_wait_alu 0xf1ff
	v_add_co_ci_u32_e64 v61, s2, s5, v57, s2
	s_clause 0x1
	global_load_b128 v[48:51], v255, s[8:9] offset:14400
	global_load_b128 v[52:55], v255, s[8:9] offset:15600
	v_add_co_u32 v64, s2, v60, s4
	s_wait_alu 0xf1ff
	v_add_co_ci_u32_e64 v65, s2, s5, v61, s2
	s_clause 0x1
	global_load_b128 v[56:59], v[56:57], off
	global_load_b128 v[60:63], v[60:61], off
	v_add_co_u32 v68, s2, v64, s4
	s_wait_alu 0xf1ff
	v_add_co_ci_u32_e64 v69, s2, s5, v65, s2
	s_delay_alu instid0(VALU_DEP_2) | instskip(SKIP_1) | instid1(VALU_DEP_2)
	v_add_co_u32 v72, s2, v68, s4
	s_wait_alu 0xf1ff
	v_add_co_ci_u32_e64 v73, s2, s5, v69, s2
	s_clause 0x1
	global_load_b128 v[64:67], v[64:65], off
	global_load_b128 v[68:71], v[68:69], off
	v_add_co_u32 v76, s2, v72, s4
	s_wait_alu 0xf1ff
	v_add_co_ci_u32_e64 v77, s2, s5, v73, s2
	global_load_b128 v[72:75], v[72:73], off
	v_add_co_u32 v80, s2, v76, s4
	s_wait_alu 0xf1ff
	v_add_co_ci_u32_e64 v81, s2, s5, v77, s2
	;; [unrolled: 4-line block ×12, first 2 shown]
	s_clause 0x1
	global_load_b128 v[116:119], v255, s[8:9] offset:16800
	global_load_b128 v[120:123], v255, s[8:9] offset:18000
	global_load_b128 v[124:127], v[124:125], off
	global_load_b128 v[128:131], v255, s[8:9] offset:19200
	global_load_b128 v[132:135], v[132:133], off
	s_wait_loadcnt 0x13
	v_mul_f64_e32 v[136:137], v[58:59], v[2:3]
	v_mul_f64_e32 v[2:3], v[56:57], v[2:3]
	s_wait_loadcnt 0x12
	v_mul_f64_e32 v[138:139], v[62:63], v[6:7]
	v_mul_f64_e32 v[6:7], v[60:61], v[6:7]
	s_wait_loadcnt 0x11
	v_mul_f64_e32 v[140:141], v[66:67], v[10:11]
	v_mul_f64_e32 v[10:11], v[64:65], v[10:11]
	s_wait_loadcnt 0x10
	v_mul_f64_e32 v[142:143], v[70:71], v[14:15]
	v_mul_f64_e32 v[14:15], v[68:69], v[14:15]
	s_wait_loadcnt 0xf
	v_mul_f64_e32 v[144:145], v[74:75], v[18:19]
	v_mul_f64_e32 v[18:19], v[72:73], v[18:19]
	s_wait_loadcnt 0xe
	v_mul_f64_e32 v[146:147], v[78:79], v[22:23]
	v_mul_f64_e32 v[22:23], v[76:77], v[22:23]
	s_wait_loadcnt 0xd
	v_mul_f64_e32 v[148:149], v[82:83], v[26:27]
	v_mul_f64_e32 v[26:27], v[80:81], v[26:27]
	s_wait_loadcnt 0xc
	v_mul_f64_e32 v[150:151], v[86:87], v[30:31]
	v_mul_f64_e32 v[30:31], v[84:85], v[30:31]
	s_wait_loadcnt 0xb
	v_mul_f64_e32 v[152:153], v[90:91], v[34:35]
	v_mul_f64_e32 v[34:35], v[88:89], v[34:35]
	s_wait_loadcnt 0xa
	v_mul_f64_e32 v[154:155], v[94:95], v[38:39]
	v_mul_f64_e32 v[38:39], v[92:93], v[38:39]
	s_wait_loadcnt 0x9
	v_mul_f64_e32 v[156:157], v[98:99], v[42:43]
	v_mul_f64_e32 v[42:43], v[96:97], v[42:43]
	s_wait_loadcnt 0x8
	v_mul_f64_e32 v[158:159], v[102:103], v[46:47]
	v_mul_f64_e32 v[46:47], v[100:101], v[46:47]
	s_wait_loadcnt 0x7
	v_mul_f64_e32 v[160:161], v[106:107], v[50:51]
	v_mul_f64_e32 v[50:51], v[104:105], v[50:51]
	s_wait_loadcnt 0x6
	v_mul_f64_e32 v[162:163], v[110:111], v[54:55]
	v_mul_f64_e32 v[164:165], v[108:109], v[54:55]
	v_fma_f64 v[54:55], v[56:57], v[0:1], v[136:137]
	v_fma_f64 v[56:57], v[58:59], v[0:1], -v[2:3]
	v_fma_f64 v[0:1], v[60:61], v[4:5], v[138:139]
	v_fma_f64 v[2:3], v[62:63], v[4:5], -v[6:7]
	s_wait_loadcnt 0x4
	v_mul_f64_e32 v[166:167], v[114:115], v[118:119]
	v_mul_f64_e32 v[118:119], v[112:113], v[118:119]
	s_wait_loadcnt 0x2
	v_mul_f64_e32 v[168:169], v[126:127], v[122:123]
	v_mul_f64_e32 v[122:123], v[124:125], v[122:123]
	s_wait_loadcnt 0x0
	v_mul_f64_e32 v[170:171], v[134:135], v[130:131]
	v_mul_f64_e32 v[130:131], v[132:133], v[130:131]
	v_fma_f64 v[4:5], v[64:65], v[8:9], v[140:141]
	v_fma_f64 v[6:7], v[66:67], v[8:9], -v[10:11]
	v_fma_f64 v[8:9], v[68:69], v[12:13], v[142:143]
	v_fma_f64 v[10:11], v[70:71], v[12:13], -v[14:15]
	;; [unrolled: 2-line block ×12, first 2 shown]
	v_lshl_add_u32 v52, v226, 4, v233
	v_add_nc_u32_e32 v53, v233, v255
	v_fma_f64 v[58:59], v[112:113], v[116:117], v[166:167]
	v_fma_f64 v[60:61], v[114:115], v[116:117], -v[118:119]
	v_fma_f64 v[62:63], v[124:125], v[120:121], v[168:169]
	v_fma_f64 v[64:65], v[126:127], v[120:121], -v[122:123]
	;; [unrolled: 2-line block ×3, first 2 shown]
	ds_store_b128 v52, v[54:57]
	ds_store_b128 v53, v[0:3] offset:1200
	ds_store_b128 v53, v[4:7] offset:2400
	;; [unrolled: 1-line block ×16, first 2 shown]
.LBB0_3:
	s_or_b32 exec_lo, exec_lo, s3
	s_clause 0x1
	s_load_b64 s[4:5], s[0:1], 0x20
	s_load_b64 s[2:3], s[0:1], 0x8
	global_wb scope:SCOPE_SE
	s_wait_dscnt 0x0
	s_wait_kmcnt 0x0
	s_barrier_signal -1
	s_barrier_wait -1
	global_inv scope:SCOPE_SE
                                        ; implicit-def: $vgpr8_vgpr9
                                        ; implicit-def: $vgpr28_vgpr29
                                        ; implicit-def: $vgpr36_vgpr37
                                        ; implicit-def: $vgpr40_vgpr41
                                        ; implicit-def: $vgpr44_vgpr45
                                        ; implicit-def: $vgpr52_vgpr53
                                        ; implicit-def: $vgpr56_vgpr57
                                        ; implicit-def: $vgpr64_vgpr65
                                        ; implicit-def: $vgpr68_vgpr69
                                        ; implicit-def: $vgpr72_vgpr73
                                        ; implicit-def: $vgpr60_vgpr61
                                        ; implicit-def: $vgpr48_vgpr49
                                        ; implicit-def: $vgpr32_vgpr33
                                        ; implicit-def: $vgpr24_vgpr25
                                        ; implicit-def: $vgpr20_vgpr21
                                        ; implicit-def: $vgpr16_vgpr17
                                        ; implicit-def: $vgpr12_vgpr13
	s_and_saveexec_b32 s0, vcc_lo
	s_cbranch_execz .LBB0_5
; %bb.4:
	v_lshl_add_u32 v0, v204, 4, v255
	ds_load_b128 v[8:11], v0
	ds_load_b128 v[28:31], v0 offset:1200
	ds_load_b128 v[36:39], v0 offset:2400
	;; [unrolled: 1-line block ×16, first 2 shown]
.LBB0_5:
	s_wait_alu 0xfffe
	s_or_b32 exec_lo, exec_lo, s0
	s_wait_dscnt 0x0
	v_add_f64_e64 v[162:163], v[30:31], -v[14:15]
	v_add_f64_e64 v[168:169], v[28:29], -v[12:13]
	s_mov_b32 s0, 0x5d8e7cdc
	s_mov_b32 s10, 0x2a9d6da3
	s_mov_b32 s1, 0xbfd71e95
	s_mov_b32 s11, 0xbfe58eea
	v_add_f64_e32 v[160:161], v[28:29], v[12:13]
	v_add_f64_e32 v[166:167], v[30:31], v[14:15]
	v_add_f64_e64 v[90:91], v[38:39], -v[18:19]
	v_add_f64_e64 v[76:77], v[36:37], -v[16:17]
	s_mov_b32 s6, 0x370991
	s_mov_b32 s14, 0x75d4884
	s_mov_b32 s20, 0xeb564b22
	s_mov_b32 s7, 0x3fedd6d0
	s_mov_b32 s15, 0x3fe7a5f6
	s_mov_b32 s21, 0xbfefdd0d
	v_add_f64_e32 v[78:79], v[36:37], v[16:17]
	v_add_f64_e32 v[94:95], v[38:39], v[18:19]
	v_add_f64_e64 v[96:97], v[42:43], -v[22:23]
	v_add_f64_e64 v[80:81], v[40:41], -v[20:21]
	s_mov_b32 s16, 0x3259b75e
	s_mov_b32 s26, 0x7c9e640b
	;; [unrolled: 10-line block ×3, first 2 shown]
	s_mov_b32 s24, 0xacd6c6b4
	s_mov_b32 s29, 0x3fdc86fa
	;; [unrolled: 1-line block ×4, first 2 shown]
	v_add_f64_e32 v[86:87], v[44:45], v[24:25]
	v_add_f64_e32 v[110:111], v[46:47], v[26:27]
	s_wait_alu 0xfffe
	v_mul_f64_e32 v[176:177], s[0:1], v[162:163]
	v_mul_f64_e32 v[184:185], s[0:1], v[168:169]
	;; [unrolled: 1-line block ×4, first 2 shown]
	v_add_f64_e64 v[88:89], v[52:53], -v[32:33]
	v_add_f64_e64 v[114:115], v[54:55], -v[34:35]
	s_mov_b32 s30, 0x7faef3
	s_mov_b32 s34, 0x923c349f
	v_mul_f64_e32 v[136:137], s[10:11], v[90:91]
	v_mul_f64_e32 v[138:139], s[10:11], v[76:77]
	;; [unrolled: 1-line block ×4, first 2 shown]
	s_mov_b32 s36, 0x4363dd80
	s_mov_b32 s31, 0xbfef7484
	;; [unrolled: 1-line block ×4, first 2 shown]
	v_add_f64_e32 v[118:119], v[54:55], v[34:35]
	v_add_f64_e64 v[120:121], v[58:59], -v[50:51]
	v_mul_f64_e32 v[144:145], s[26:27], v[96:97]
	v_mul_f64_e32 v[148:149], s[26:27], v[80:81]
	;; [unrolled: 1-line block ×4, first 2 shown]
	s_mov_b32 s40, 0xc61f0d01
	s_mov_b32 s38, 0x910ea3b9
	s_mov_b32 s41, 0xbfd183b1
	s_mov_b32 s39, 0xbfeb34fa
	s_mov_b32 s49, 0x3feec746
	s_mov_b32 s48, s34
	v_mul_f64_e32 v[158:159], s[20:21], v[84:85]
	v_mul_f64_e32 v[152:153], s[20:21], v[106:107]
	;; [unrolled: 1-line block ×4, first 2 shown]
	v_add_f64_e64 v[124:125], v[66:67], -v[62:63]
	s_mov_b32 s47, 0xbfe0d888
	s_mov_b32 s43, 0x3feca52d
	;; [unrolled: 1-line block ×5, first 2 shown]
	v_fma_f64 v[0:1], v[160:161], s[6:7], v[176:177]
	v_fma_f64 v[2:3], v[166:167], s[6:7], -v[184:185]
	v_fma_f64 v[4:5], v[160:161], s[14:15], v[186:187]
	v_fma_f64 v[6:7], v[166:167], s[14:15], -v[192:193]
	v_mul_f64_e32 v[174:175], s[34:35], v[88:89]
	v_mul_f64_e32 v[172:173], s[34:35], v[114:115]
	;; [unrolled: 1-line block ×4, first 2 shown]
	v_fma_f64 v[92:93], v[78:79], s[14:15], v[136:137]
	v_fma_f64 v[98:99], v[94:95], s[14:15], -v[138:139]
	v_fma_f64 v[102:103], v[78:79], s[16:17], v[126:127]
	v_fma_f64 v[104:105], v[94:95], s[16:17], -v[130:131]
	s_mov_b32 s44, s0
	global_wb scope:SCOPE_SE
	s_barrier_signal -1
	s_barrier_wait -1
	global_inv scope:SCOPE_SE
	v_mul_f64_e32 v[182:183], s[18:19], v[120:121]
	v_fma_f64 v[108:109], v[82:83], s[28:29], v[144:145]
	v_fma_f64 v[112:113], v[100:101], s[28:29], -v[148:149]
	v_fma_f64 v[116:117], v[82:83], s[22:23], v[140:141]
	v_fma_f64 v[122:123], v[100:101], s[22:23], -v[142:143]
	v_mul_f64_e32 v[164:165], s[48:49], v[120:121]
	v_fma_f64 v[132:133], v[110:111], s[16:17], -v[158:159]
	v_fma_f64 v[128:129], v[86:87], s[16:17], v[152:153]
	v_fma_f64 v[134:135], v[86:87], s[30:31], v[146:147]
	v_fma_f64 v[178:179], v[110:111], s[30:31], -v[150:151]
	v_mul_f64_e32 v[196:197], s[46:47], v[124:125]
	v_add_f64_e32 v[0:1], v[8:9], v[0:1]
	v_add_f64_e32 v[2:3], v[10:11], v[2:3]
	;; [unrolled: 1-line block ×4, first 2 shown]
	v_fma_f64 v[190:191], v[118:119], s[40:41], -v[174:175]
	v_fma_f64 v[200:201], v[118:119], s[38:39], -v[156:157]
	v_add_f64_e32 v[0:1], v[92:93], v[0:1]
	v_add_f64_e32 v[2:3], v[98:99], v[2:3]
	;; [unrolled: 1-line block ×5, first 2 shown]
	v_add_f64_e64 v[98:99], v[56:57], -v[48:49]
	v_add_f64_e32 v[102:103], v[56:57], v[48:49]
	v_add_f64_e64 v[104:105], v[64:65], -v[60:61]
	v_add_f64_e32 v[0:1], v[108:109], v[0:1]
	v_add_f64_e32 v[2:3], v[112:113], v[2:3]
	;; [unrolled: 1-line block ×5, first 2 shown]
	v_mul_f64_e32 v[188:189], s[18:19], v[98:99]
	v_mul_f64_e32 v[170:171], s[48:49], v[98:99]
	v_fma_f64 v[116:117], v[92:93], s[40:41], v[172:173]
	v_fma_f64 v[194:195], v[92:93], s[38:39], v[154:155]
	v_add_f64_e32 v[108:109], v[64:65], v[60:61]
	v_add_f64_e64 v[112:113], v[68:69], -v[72:73]
	v_mul_f64_e32 v[198:199], s[46:47], v[104:105]
	v_mul_f64_e32 v[180:181], s[42:43], v[104:105]
	v_fma_f64 v[205:206], v[102:103], s[22:23], v[182:183]
	v_fma_f64 v[209:210], v[102:103], s[40:41], v[164:165]
	v_add_f64_e32 v[0:1], v[128:129], v[0:1]
	v_add_f64_e32 v[2:3], v[132:133], v[2:3]
	v_add_f64_e32 v[4:5], v[134:135], v[4:5]
	v_add_f64_e32 v[6:7], v[178:179], v[6:7]
	v_add_f64_e32 v[128:129], v[66:67], v[62:63]
	v_add_f64_e64 v[132:133], v[70:71], -v[74:75]
	v_mul_f64_e32 v[178:179], s[42:43], v[124:125]
	v_fma_f64 v[207:208], v[122:123], s[22:23], -v[188:189]
	v_fma_f64 v[211:212], v[122:123], s[40:41], -v[170:171]
	v_add_f64_e32 v[134:135], v[70:71], v[74:75]
	v_mul_f64_e32 v[202:203], s[24:25], v[112:113]
	v_fma_f64 v[213:214], v[108:109], s[38:39], v[196:197]
	v_add_f64_e32 v[0:1], v[116:117], v[0:1]
	v_add_f64_e32 v[2:3], v[190:191], v[2:3]
	;; [unrolled: 1-line block ×5, first 2 shown]
	v_mul_f64_e32 v[200:201], s[24:25], v[132:133]
	v_mul_f64_e32 v[190:191], s[44:45], v[132:133]
	;; [unrolled: 1-line block ×3, first 2 shown]
	v_fma_f64 v[215:216], v[128:129], s[38:39], -v[198:199]
	v_fma_f64 v[217:218], v[108:109], s[28:29], v[178:179]
	v_fma_f64 v[219:220], v[128:129], s[28:29], -v[180:181]
	v_add_f64_e32 v[0:1], v[205:206], v[0:1]
	v_add_f64_e32 v[2:3], v[207:208], v[2:3]
	;; [unrolled: 1-line block ×4, first 2 shown]
	v_fma_f64 v[207:208], v[134:135], s[30:31], -v[202:203]
	v_fma_f64 v[205:206], v[116:117], s[30:31], v[200:201]
	v_fma_f64 v[209:210], v[116:117], s[6:7], v[190:191]
	v_fma_f64 v[211:212], v[134:135], s[6:7], -v[194:195]
	v_add_f64_e32 v[0:1], v[213:214], v[0:1]
	v_add_f64_e32 v[2:3], v[215:216], v[2:3]
	;; [unrolled: 1-line block ×4, first 2 shown]
	s_delay_alu instid0(VALU_DEP_4) | instskip(NEXT) | instid1(VALU_DEP_4)
	v_add_f64_e32 v[213:214], v[205:206], v[0:1]
	v_add_f64_e32 v[215:216], v[207:208], v[2:3]
	s_delay_alu instid0(VALU_DEP_4) | instskip(NEXT) | instid1(VALU_DEP_4)
	v_add_f64_e32 v[217:218], v[209:210], v[4:5]
	v_add_f64_e32 v[219:220], v[211:212], v[6:7]
	s_and_saveexec_b32 s33, vcc_lo
	s_cbranch_execz .LBB0_7
; %bb.6:
	v_add_f64_e32 v[0:1], v[10:11], v[30:31]
	v_add_f64_e32 v[2:3], v[8:9], v[28:29]
	s_mov_b32 s53, 0x3fe9895b
	s_mov_b32 s52, s18
	v_mul_f64_e32 v[28:29], s[28:29], v[166:167]
	s_mov_b32 s55, 0x3fc7851a
	s_mov_b32 s54, s24
	v_mul_f64_e32 v[4:5], s[38:39], v[166:167]
	s_mov_b32 s51, 0x3fefdd0d
	s_mov_b32 s50, s20
	;; [unrolled: 1-line block ×4, first 2 shown]
	v_mul_f64_e32 v[205:206], s[18:19], v[132:133]
	v_add_f64_e32 v[0:1], v[0:1], v[38:39]
	v_add_f64_e32 v[2:3], v[2:3], v[36:37]
	v_mul_f64_e32 v[38:39], s[24:25], v[162:163]
	v_mul_f64_e32 v[36:37], s[6:7], v[166:167]
	v_fma_f64 v[30:31], v[168:169], s[42:43], v[28:29]
	v_fma_f64 v[28:29], v[168:169], s[26:27], v[28:29]
	v_fma_f64 v[6:7], v[168:169], s[36:37], v[4:5]
	v_fma_f64 v[4:5], v[168:169], s[46:47], v[4:5]
	v_add_f64_e32 v[0:1], v[0:1], v[42:43]
	v_add_f64_e32 v[2:3], v[2:3], v[40:41]
	v_mul_f64_e32 v[40:41], s[46:47], v[162:163]
	v_mul_f64_e32 v[42:43], s[18:19], v[162:163]
	v_add_f64_e32 v[36:37], v[184:185], v[36:37]
	v_mul_f64_e32 v[184:185], s[16:17], v[134:135]
	v_add_f64_e32 v[6:7], v[10:11], v[6:7]
	v_add_f64_e32 v[4:5], v[10:11], v[4:5]
	;; [unrolled: 1-line block ×4, first 2 shown]
	v_mul_f64_e32 v[44:45], s[34:35], v[162:163]
	v_mul_f64_e32 v[46:47], s[20:21], v[162:163]
	s_delay_alu instid0(VALU_DEP_4) | instskip(NEXT) | instid1(VALU_DEP_4)
	v_add_f64_e32 v[0:1], v[0:1], v[54:55]
	v_add_f64_e32 v[2:3], v[2:3], v[52:53]
	v_fma_f64 v[52:53], v[160:161], s[38:39], v[40:41]
	v_fma_f64 v[40:41], v[160:161], s[38:39], -v[40:41]
	v_fma_f64 v[54:55], v[160:161], s[22:23], v[42:43]
	v_fma_f64 v[42:43], v[160:161], s[22:23], -v[42:43]
	v_add_f64_e32 v[0:1], v[0:1], v[58:59]
	v_add_f64_e32 v[2:3], v[2:3], v[56:57]
	v_fma_f64 v[56:57], v[160:161], s[40:41], v[44:45]
	v_fma_f64 v[44:45], v[160:161], s[40:41], -v[44:45]
	v_fma_f64 v[58:59], v[160:161], s[16:17], v[46:47]
	v_fma_f64 v[46:47], v[160:161], s[16:17], -v[46:47]
	v_add_f64_e32 v[52:53], v[8:9], v[52:53]
	v_add_f64_e32 v[40:41], v[8:9], v[40:41]
	v_add_f64_e32 v[54:55], v[8:9], v[54:55]
	v_add_f64_e32 v[0:1], v[0:1], v[66:67]
	v_add_f64_e32 v[2:3], v[2:3], v[64:65]
	v_add_f64_e32 v[56:57], v[8:9], v[56:57]
	v_add_f64_e32 v[44:45], v[8:9], v[44:45]
	v_add_f64_e32 v[46:47], v[8:9], v[46:47]
	v_add_f64_e32 v[0:1], v[0:1], v[70:71]
	v_add_f64_e32 v[2:3], v[2:3], v[68:69]
	v_add_f64_e32 v[68:69], v[8:9], v[42:43]
	s_delay_alu instid0(VALU_DEP_3) | instskip(NEXT) | instid1(VALU_DEP_3)
	v_add_f64_e32 v[0:1], v[0:1], v[74:75]
	v_add_f64_e32 v[2:3], v[2:3], v[72:73]
	s_delay_alu instid0(VALU_DEP_2) | instskip(NEXT) | instid1(VALU_DEP_2)
	v_add_f64_e32 v[0:1], v[0:1], v[62:63]
	v_add_f64_e32 v[2:3], v[2:3], v[60:61]
	v_mul_f64_e32 v[62:63], s[6:7], v[160:161]
	s_delay_alu instid0(VALU_DEP_3) | instskip(NEXT) | instid1(VALU_DEP_3)
	v_add_f64_e32 v[0:1], v[0:1], v[50:51]
	v_add_f64_e32 v[2:3], v[2:3], v[48:49]
	v_mul_f64_e32 v[48:49], s[26:27], v[162:163]
	v_fma_f64 v[50:51], v[160:161], s[30:31], v[38:39]
	v_fma_f64 v[38:39], v[160:161], s[30:31], -v[38:39]
	v_add_f64_e64 v[62:63], v[62:63], -v[176:177]
	v_add_f64_e32 v[162:163], v[10:11], v[30:31]
	v_mul_f64_e32 v[176:177], s[34:35], v[124:125]
	v_add_f64_e32 v[0:1], v[0:1], v[34:35]
	v_add_f64_e32 v[2:3], v[2:3], v[32:33]
	v_mul_f64_e32 v[34:35], s[14:15], v[160:161]
	v_mul_f64_e32 v[32:33], s[14:15], v[166:167]
	v_fma_f64 v[60:61], v[160:161], s[28:29], v[48:49]
	v_fma_f64 v[48:49], v[160:161], s[28:29], -v[48:49]
	v_add_f64_e32 v[50:51], v[8:9], v[50:51]
	v_add_f64_e32 v[38:39], v[8:9], v[38:39]
	;; [unrolled: 1-line block ×6, first 2 shown]
	v_mul_f64_e32 v[36:37], s[22:23], v[118:119]
	v_mul_f64_e32 v[62:63], s[42:43], v[120:121]
	v_add_f64_e32 v[0:1], v[0:1], v[26:27]
	v_add_f64_e32 v[2:3], v[2:3], v[24:25]
	v_mul_f64_e32 v[24:25], s[16:17], v[166:167]
	v_add_f64_e64 v[34:35], v[34:35], -v[186:187]
	v_add_f64_e32 v[32:33], v[192:193], v[32:33]
	v_add_f64_e32 v[48:49], v[8:9], v[48:49]
	v_mul_f64_e32 v[192:193], s[24:25], v[114:115]
	v_add_f64_e32 v[0:1], v[0:1], v[22:23]
	v_add_f64_e32 v[2:3], v[2:3], v[20:21]
	v_mul_f64_e32 v[20:21], s[40:41], v[166:167]
	v_fma_f64 v[26:27], v[168:169], s[50:51], v[24:25]
	v_fma_f64 v[24:25], v[168:169], s[20:21], v[24:25]
	v_add_f64_e32 v[34:35], v[8:9], v[34:35]
	v_add_f64_e32 v[32:33], v[10:11], v[32:33]
	;; [unrolled: 1-line block ×4, first 2 shown]
	v_mul_f64_e32 v[16:17], s[22:23], v[166:167]
	v_fma_f64 v[22:23], v[168:169], s[48:49], v[20:21]
	v_fma_f64 v[20:21], v[168:169], s[34:35], v[20:21]
	v_add_f64_e32 v[74:75], v[10:11], v[26:27]
	v_add_f64_e32 v[42:43], v[10:11], v[24:25]
	v_mul_f64_e32 v[24:25], s[14:15], v[110:111]
	v_mul_f64_e32 v[26:27], s[56:57], v[106:107]
	v_add_f64_e32 v[14:15], v[0:1], v[14:15]
	v_mul_f64_e32 v[0:1], s[30:31], v[166:167]
	v_fma_f64 v[18:19], v[168:169], s[52:53], v[16:17]
	v_fma_f64 v[16:17], v[168:169], s[18:19], v[16:17]
	v_add_f64_e32 v[12:13], v[2:3], v[12:13]
	v_add_f64_e32 v[72:73], v[10:11], v[20:21]
	v_add_f64_e32 v[166:167], v[8:9], v[60:61]
	v_mul_f64_e32 v[20:21], s[38:39], v[100:101]
	v_add_f64_e32 v[70:71], v[10:11], v[22:23]
	v_mul_f64_e32 v[22:23], s[46:47], v[96:97]
	v_mul_f64_e32 v[60:61], s[28:29], v[122:123]
	v_fma_f64 v[2:3], v[168:169], s[54:55], v[0:1]
	v_fma_f64 v[0:1], v[168:169], s[24:25], v[0:1]
	v_add_f64_e32 v[66:67], v[10:11], v[16:17]
	v_mul_f64_e32 v[16:17], s[6:7], v[94:95]
	v_add_f64_e32 v[64:65], v[10:11], v[18:19]
	v_mul_f64_e32 v[18:19], s[44:45], v[90:91]
	v_mul_f64_e32 v[168:169], s[40:41], v[128:129]
	v_add_f64_e32 v[2:3], v[10:11], v[2:3]
	v_add_f64_e32 v[0:1], v[10:11], v[0:1]
	v_fma_f64 v[10:11], v[80:81], s[36:37], v[20:21]
	v_fma_f64 v[8:9], v[76:77], s[0:1], v[16:17]
	v_fma_f64 v[16:17], v[76:77], s[44:45], v[16:17]
	s_delay_alu instid0(VALU_DEP_2) | instskip(SKIP_1) | instid1(VALU_DEP_3)
	v_add_f64_e32 v[2:3], v[8:9], v[2:3]
	v_fma_f64 v[8:9], v[78:79], s[6:7], v[18:19]
	v_add_f64_e32 v[0:1], v[16:17], v[0:1]
	v_fma_f64 v[16:17], v[78:79], s[6:7], -v[18:19]
	v_fma_f64 v[18:19], v[80:81], s[46:47], v[20:21]
	v_add_f64_e32 v[2:3], v[10:11], v[2:3]
	v_add_f64_e32 v[8:9], v[8:9], v[50:51]
	v_fma_f64 v[10:11], v[82:83], s[38:39], v[22:23]
	v_add_f64_e32 v[16:17], v[16:17], v[38:39]
	v_add_f64_e32 v[0:1], v[18:19], v[0:1]
	v_fma_f64 v[18:19], v[82:83], s[38:39], -v[22:23]
	v_mul_f64_e32 v[50:51], s[18:19], v[114:115]
	v_mul_f64_e32 v[38:39], s[52:53], v[106:107]
	v_add_f64_e32 v[8:9], v[10:11], v[8:9]
	v_fma_f64 v[10:11], v[84:85], s[10:11], v[24:25]
	v_add_f64_e32 v[16:17], v[18:19], v[16:17]
	v_fma_f64 v[18:19], v[84:85], s[56:57], v[24:25]
	v_mul_f64_e32 v[24:25], s[16:17], v[100:101]
	s_delay_alu instid0(VALU_DEP_4) | instskip(SKIP_1) | instid1(VALU_DEP_4)
	v_add_f64_e32 v[2:3], v[10:11], v[2:3]
	v_fma_f64 v[10:11], v[86:87], s[14:15], v[26:27]
	v_add_f64_e32 v[0:1], v[18:19], v[0:1]
	v_fma_f64 v[18:19], v[86:87], s[14:15], -v[26:27]
	v_fma_f64 v[22:23], v[80:81], s[50:51], v[24:25]
	v_mul_f64_e32 v[26:27], s[20:21], v[96:97]
	v_add_f64_e32 v[8:9], v[10:11], v[8:9]
	v_fma_f64 v[10:11], v[88:89], s[52:53], v[36:37]
	v_add_f64_e32 v[16:17], v[18:19], v[16:17]
	v_fma_f64 v[18:19], v[88:89], s[18:19], v[36:37]
	v_mul_f64_e32 v[36:37], s[22:23], v[110:111]
	s_delay_alu instid0(VALU_DEP_4) | instskip(SKIP_1) | instid1(VALU_DEP_4)
	v_add_f64_e32 v[2:3], v[10:11], v[2:3]
	v_fma_f64 v[10:11], v[92:93], s[22:23], v[50:51]
	v_add_f64_e32 v[0:1], v[18:19], v[0:1]
	v_fma_f64 v[18:19], v[92:93], s[22:23], -v[50:51]
	v_mul_f64_e32 v[50:51], s[6:7], v[118:119]
	s_delay_alu instid0(VALU_DEP_4) | instskip(SKIP_1) | instid1(VALU_DEP_4)
	v_add_f64_e32 v[8:9], v[10:11], v[8:9]
	v_fma_f64 v[10:11], v[98:99], s[26:27], v[60:61]
	v_add_f64_e32 v[16:17], v[18:19], v[16:17]
	v_fma_f64 v[18:19], v[98:99], s[42:43], v[60:61]
	v_mul_f64_e32 v[60:61], s[30:31], v[122:123]
	s_delay_alu instid0(VALU_DEP_4) | instskip(SKIP_1) | instid1(VALU_DEP_4)
	v_add_f64_e32 v[2:3], v[10:11], v[2:3]
	v_fma_f64 v[10:11], v[102:103], s[28:29], v[62:63]
	v_add_f64_e32 v[0:1], v[18:19], v[0:1]
	v_fma_f64 v[18:19], v[102:103], s[28:29], -v[62:63]
	v_mul_f64_e32 v[62:63], s[24:25], v[120:121]
	s_delay_alu instid0(VALU_DEP_4) | instskip(SKIP_1) | instid1(VALU_DEP_4)
	;; [unrolled: 12-line block ×3, first 2 shown]
	v_add_f64_e32 v[8:9], v[10:11], v[8:9]
	v_fma_f64 v[10:11], v[112:113], s[20:21], v[184:185]
	v_add_f64_e32 v[16:17], v[18:19], v[16:17]
	v_fma_f64 v[18:19], v[112:113], s[50:51], v[184:185]
	v_mul_f64_e32 v[184:185], s[40:41], v[134:135]
	s_delay_alu instid0(VALU_DEP_4) | instskip(SKIP_1) | instid1(VALU_DEP_4)
	v_add_f64_e32 v[10:11], v[10:11], v[2:3]
	v_mul_f64_e32 v[2:3], s[50:51], v[132:133]
	v_add_f64_e32 v[18:19], v[18:19], v[0:1]
	v_mul_f64_e32 v[0:1], s[28:29], v[94:95]
	s_delay_alu instid0(VALU_DEP_3) | instskip(SKIP_1) | instid1(VALU_DEP_2)
	v_fma_f64 v[186:187], v[116:117], s[16:17], v[2:3]
	v_fma_f64 v[2:3], v[116:117], s[16:17], -v[2:3]
	v_add_f64_e32 v[8:9], v[186:187], v[8:9]
	s_delay_alu instid0(VALU_DEP_2) | instskip(SKIP_2) | instid1(VALU_DEP_2)
	v_add_f64_e32 v[16:17], v[2:3], v[16:17]
	v_fma_f64 v[2:3], v[76:77], s[26:27], v[0:1]
	v_fma_f64 v[0:1], v[76:77], s[42:43], v[0:1]
	v_add_f64_e32 v[2:3], v[2:3], v[6:7]
	v_mul_f64_e32 v[6:7], s[42:43], v[90:91]
	s_delay_alu instid0(VALU_DEP_3) | instskip(NEXT) | instid1(VALU_DEP_3)
	v_add_f64_e32 v[0:1], v[0:1], v[4:5]
	v_add_f64_e32 v[2:3], v[22:23], v[2:3]
	s_delay_alu instid0(VALU_DEP_3) | instskip(SKIP_3) | instid1(VALU_DEP_4)
	v_fma_f64 v[20:21], v[78:79], s[28:29], v[6:7]
	v_fma_f64 v[22:23], v[82:83], s[16:17], v[26:27]
	v_fma_f64 v[4:5], v[78:79], s[28:29], -v[6:7]
	v_fma_f64 v[6:7], v[80:81], s[20:21], v[24:25]
	v_add_f64_e32 v[20:21], v[20:21], v[52:53]
	v_mul_f64_e32 v[52:53], s[0:1], v[114:115]
	s_delay_alu instid0(VALU_DEP_4) | instskip(NEXT) | instid1(VALU_DEP_4)
	v_add_f64_e32 v[4:5], v[4:5], v[40:41]
	v_add_f64_e32 v[0:1], v[6:7], v[0:1]
	v_fma_f64 v[6:7], v[82:83], s[16:17], -v[26:27]
	v_mul_f64_e32 v[40:41], s[40:41], v[118:119]
	v_add_f64_e32 v[20:21], v[22:23], v[20:21]
	v_fma_f64 v[22:23], v[84:85], s[18:19], v[36:37]
	s_delay_alu instid0(VALU_DEP_4)
	v_add_f64_e32 v[4:5], v[6:7], v[4:5]
	v_fma_f64 v[6:7], v[84:85], s[52:53], v[36:37]
	v_mul_f64_e32 v[36:37], s[28:29], v[82:83]
	v_add_f64_e32 v[40:41], v[174:175], v[40:41]
	v_mul_f64_e32 v[174:175], s[22:23], v[128:129]
	v_add_f64_e32 v[2:3], v[22:23], v[2:3]
	v_fma_f64 v[22:23], v[86:87], s[22:23], v[38:39]
	v_add_f64_e32 v[0:1], v[6:7], v[0:1]
	v_fma_f64 v[6:7], v[86:87], s[22:23], -v[38:39]
	v_mul_f64_e32 v[38:39], s[14:15], v[78:79]
	v_add_f64_e64 v[36:37], v[36:37], -v[144:145]
	v_mul_f64_e32 v[144:145], s[6:7], v[122:123]
	v_add_f64_e32 v[20:21], v[22:23], v[20:21]
	v_fma_f64 v[22:23], v[88:89], s[44:45], v[50:51]
	v_add_f64_e32 v[4:5], v[6:7], v[4:5]
	v_fma_f64 v[6:7], v[88:89], s[0:1], v[50:51]
	v_add_f64_e64 v[38:39], v[38:39], -v[136:137]
	v_mul_f64_e32 v[50:51], s[40:41], v[92:93]
	v_mul_f64_e32 v[136:137], s[40:41], v[110:111]
	v_add_f64_e32 v[2:3], v[22:23], v[2:3]
	v_fma_f64 v[22:23], v[92:93], s[6:7], v[52:53]
	v_add_f64_e32 v[0:1], v[6:7], v[0:1]
	v_fma_f64 v[6:7], v[92:93], s[6:7], -v[52:53]
	v_add_f64_e64 v[50:51], v[50:51], -v[172:173]
	v_mul_f64_e32 v[52:53], s[22:23], v[122:123]
	v_mul_f64_e32 v[172:173], s[46:47], v[120:121]
	v_add_f64_e32 v[20:21], v[22:23], v[20:21]
	v_fma_f64 v[22:23], v[98:99], s[54:55], v[60:61]
	v_add_f64_e32 v[4:5], v[6:7], v[4:5]
	v_fma_f64 v[6:7], v[98:99], s[24:25], v[60:61]
	v_add_f64_e32 v[52:53], v[188:189], v[52:53]
	v_mul_f64_e32 v[60:61], s[24:25], v[90:91]
	v_mul_f64_e32 v[188:189], s[26:27], v[106:107]
	v_add_f64_e32 v[2:3], v[22:23], v[2:3]
	v_fma_f64 v[22:23], v[102:103], s[30:31], v[62:63]
	v_add_f64_e32 v[0:1], v[6:7], v[0:1]
	v_fma_f64 v[6:7], v[102:103], s[30:31], -v[62:63]
	v_mul_f64_e32 v[62:63], s[40:41], v[100:101]
	s_delay_alu instid0(VALU_DEP_4) | instskip(SKIP_1) | instid1(VALU_DEP_4)
	v_add_f64_e32 v[20:21], v[22:23], v[20:21]
	v_fma_f64 v[22:23], v[104:105], s[10:11], v[168:169]
	v_add_f64_e32 v[4:5], v[6:7], v[4:5]
	v_fma_f64 v[6:7], v[104:105], s[56:57], v[168:169]
	v_mul_f64_e32 v[168:169], s[26:27], v[114:115]
	s_delay_alu instid0(VALU_DEP_4) | instskip(SKIP_1) | instid1(VALU_DEP_4)
	v_add_f64_e32 v[2:3], v[22:23], v[2:3]
	v_fma_f64 v[22:23], v[108:109], s[14:15], v[176:177]
	v_add_f64_e32 v[0:1], v[6:7], v[0:1]
	v_fma_f64 v[6:7], v[108:109], s[14:15], -v[176:177]
	v_mul_f64_e32 v[176:177], s[52:53], v[124:125]
	s_delay_alu instid0(VALU_DEP_4) | instskip(SKIP_1) | instid1(VALU_DEP_4)
	v_add_f64_e32 v[20:21], v[22:23], v[20:21]
	v_fma_f64 v[22:23], v[112:113], s[48:49], v[184:185]
	v_add_f64_e32 v[4:5], v[6:7], v[4:5]
	v_fma_f64 v[6:7], v[112:113], s[34:35], v[184:185]
	v_mul_f64_e32 v[184:185], s[56:57], v[96:97]
	s_delay_alu instid0(VALU_DEP_4) | instskip(SKIP_1) | instid1(VALU_DEP_4)
	v_add_f64_e32 v[22:23], v[22:23], v[2:3]
	v_mul_f64_e32 v[2:3], s[34:35], v[132:133]
	v_add_f64_e32 v[26:27], v[6:7], v[0:1]
	v_mul_f64_e32 v[0:1], s[16:17], v[110:111]
	v_mul_f64_e32 v[6:7], s[16:17], v[86:87]
	s_delay_alu instid0(VALU_DEP_4) | instskip(SKIP_1) | instid1(VALU_DEP_4)
	v_fma_f64 v[186:187], v[116:117], s[40:41], v[2:3]
	v_fma_f64 v[2:3], v[116:117], s[40:41], -v[2:3]
	v_add_f64_e32 v[0:1], v[158:159], v[0:1]
	s_delay_alu instid0(VALU_DEP_4)
	v_add_f64_e64 v[6:7], v[6:7], -v[152:153]
	v_mul_f64_e32 v[152:153], s[38:39], v[134:135]
	v_mul_f64_e32 v[158:159], s[44:45], v[106:107]
	v_add_f64_e32 v[20:21], v[186:187], v[20:21]
	v_add_f64_e32 v[24:25], v[2:3], v[4:5]
	v_mul_f64_e32 v[4:5], s[14:15], v[94:95]
	v_mul_f64_e32 v[2:3], s[28:29], v[100:101]
	;; [unrolled: 1-line block ×3, first 2 shown]
	s_delay_alu instid0(VALU_DEP_3) | instskip(NEXT) | instid1(VALU_DEP_3)
	v_add_f64_e32 v[4:5], v[138:139], v[4:5]
	v_add_f64_e32 v[2:3], v[148:149], v[2:3]
	v_mul_f64_e32 v[138:139], s[48:49], v[106:107]
	v_mul_f64_e32 v[148:149], s[16:17], v[128:129]
	s_delay_alu instid0(VALU_DEP_4) | instskip(SKIP_3) | instid1(VALU_DEP_4)
	v_add_f64_e32 v[4:5], v[4:5], v[28:29]
	v_add_f64_e32 v[28:29], v[38:39], v[30:31]
	v_mul_f64_e32 v[30:31], s[22:23], v[102:103]
	v_mul_f64_e32 v[38:39], s[16:17], v[78:79]
	v_add_f64_e32 v[2:3], v[2:3], v[4:5]
	s_delay_alu instid0(VALU_DEP_4) | instskip(NEXT) | instid1(VALU_DEP_4)
	v_add_f64_e32 v[4:5], v[36:37], v[28:29]
	v_add_f64_e64 v[30:31], v[30:31], -v[182:183]
	v_mul_f64_e32 v[28:29], s[38:39], v[128:129]
	v_add_f64_e64 v[38:39], v[38:39], -v[126:127]
	v_mul_f64_e32 v[126:127], s[30:31], v[100:101]
	v_mul_f64_e32 v[182:183], s[14:15], v[100:101]
	v_add_f64_e32 v[0:1], v[0:1], v[2:3]
	v_add_f64_e32 v[2:3], v[6:7], v[4:5]
	v_mul_f64_e32 v[4:5], s[38:39], v[108:109]
	v_add_f64_e32 v[28:29], v[198:199], v[28:29]
	v_mul_f64_e32 v[6:7], s[30:31], v[134:135]
	v_mul_f64_e32 v[198:199], s[6:7], v[128:129]
	v_add_f64_e32 v[0:1], v[40:41], v[0:1]
	v_add_f64_e32 v[2:3], v[50:51], v[2:3]
	v_add_f64_e64 v[4:5], v[4:5], -v[196:197]
	v_mul_f64_e32 v[40:41], s[38:39], v[118:119]
	v_add_f64_e32 v[6:7], v[202:203], v[6:7]
	v_mul_f64_e32 v[50:51], s[38:39], v[92:93]
	v_mul_f64_e32 v[196:197], s[50:51], v[120:121]
	;; [unrolled: 1-line block ×3, first 2 shown]
	v_add_f64_e32 v[0:1], v[52:53], v[0:1]
	v_add_f64_e32 v[2:3], v[30:31], v[2:3]
	v_mul_f64_e32 v[30:31], s[30:31], v[116:117]
	v_add_f64_e32 v[40:41], v[156:157], v[40:41]
	v_mul_f64_e32 v[52:53], s[40:41], v[122:123]
	v_add_f64_e64 v[50:51], v[50:51], -v[154:155]
	v_mul_f64_e32 v[154:155], s[48:49], v[96:97]
	v_mul_f64_e32 v[156:157], s[6:7], v[110:111]
	v_add_f64_e32 v[0:1], v[28:29], v[0:1]
	v_add_f64_e32 v[2:3], v[4:5], v[2:3]
	v_add_f64_e64 v[36:37], v[30:31], -v[200:201]
	v_mul_f64_e32 v[4:5], s[16:17], v[94:95]
	v_add_f64_e32 v[52:53], v[170:171], v[52:53]
	v_mul_f64_e32 v[170:171], s[38:39], v[122:123]
	v_mul_f64_e32 v[200:201], s[0:1], v[124:125]
	v_add_f64_e32 v[30:31], v[6:7], v[0:1]
	v_mul_f64_e32 v[0:1], s[30:31], v[110:111]
	v_add_f64_e32 v[28:29], v[36:37], v[2:3]
	;; [unrolled: 2-line block ×3, first 2 shown]
	v_mul_f64_e32 v[36:37], s[22:23], v[82:83]
	v_mul_f64_e32 v[6:7], s[30:31], v[86:87]
	;; [unrolled: 1-line block ×3, first 2 shown]
	v_add_f64_e32 v[0:1], v[150:151], v[0:1]
	v_mul_f64_e32 v[150:151], s[20:21], v[124:125]
	v_add_f64_e32 v[2:3], v[142:143], v[2:3]
	v_add_f64_e32 v[4:5], v[4:5], v[32:33]
	v_add_f64_e64 v[36:37], v[36:37], -v[140:141]
	v_add_f64_e32 v[32:33], v[38:39], v[34:35]
	v_add_f64_e64 v[6:7], v[6:7], -v[146:147]
	v_mul_f64_e32 v[34:35], s[40:41], v[102:103]
	v_mul_f64_e32 v[140:141], s[14:15], v[118:119]
	;; [unrolled: 1-line block ×4, first 2 shown]
	v_add_f64_e32 v[2:3], v[2:3], v[4:5]
	v_add_f64_e32 v[4:5], v[36:37], v[32:33]
	v_mul_f64_e32 v[32:33], s[28:29], v[128:129]
	v_add_f64_e64 v[34:35], v[34:35], -v[164:165]
	v_mul_f64_e32 v[164:165], s[28:29], v[118:119]
	v_add_f64_e32 v[0:1], v[0:1], v[2:3]
	v_add_f64_e32 v[2:3], v[6:7], v[4:5]
	;; [unrolled: 1-line block ×3, first 2 shown]
	v_mul_f64_e32 v[4:5], s[28:29], v[108:109]
	v_mul_f64_e32 v[6:7], s[6:7], v[134:135]
	;; [unrolled: 1-line block ×3, first 2 shown]
	v_add_f64_e32 v[0:1], v[40:41], v[0:1]
	v_add_f64_e32 v[2:3], v[50:51], v[2:3]
	v_add_f64_e64 v[4:5], v[4:5], -v[178:179]
	v_add_f64_e32 v[6:7], v[194:195], v[6:7]
	v_mul_f64_e32 v[178:179], s[14:15], v[134:135]
	v_mul_f64_e32 v[194:195], s[16:17], v[122:123]
	v_add_f64_e32 v[0:1], v[52:53], v[0:1]
	v_mul_f64_e32 v[52:53], s[40:41], v[94:95]
	v_add_f64_e32 v[2:3], v[34:35], v[2:3]
	v_mul_f64_e32 v[34:35], s[6:7], v[116:117]
	s_delay_alu instid0(VALU_DEP_4) | instskip(NEXT) | instid1(VALU_DEP_3)
	v_add_f64_e32 v[0:1], v[32:33], v[0:1]
	v_add_f64_e32 v[2:3], v[4:5], v[2:3]
	s_delay_alu instid0(VALU_DEP_3)
	v_add_f64_e64 v[36:37], v[34:35], -v[190:191]
	v_mul_f64_e32 v[4:5], s[18:19], v[90:91]
	v_mul_f64_e32 v[190:191], s[30:31], v[118:119]
	v_add_f64_e32 v[34:35], v[6:7], v[0:1]
	v_mul_f64_e32 v[0:1], s[22:23], v[94:95]
	v_add_f64_e32 v[32:33], v[36:37], v[2:3]
	v_fma_f64 v[6:7], v[78:79], s[22:23], -v[4:5]
	v_fma_f64 v[36:37], v[80:81], s[54:55], v[126:127]
	v_fma_f64 v[4:5], v[78:79], s[22:23], v[4:5]
	v_fma_f64 v[2:3], v[76:77], s[18:19], v[0:1]
	v_fma_f64 v[0:1], v[76:77], s[52:53], v[0:1]
	v_add_f64_e32 v[6:7], v[6:7], v[48:49]
	s_delay_alu instid0(VALU_DEP_4) | instskip(NEXT) | instid1(VALU_DEP_4)
	v_add_f64_e32 v[4:5], v[4:5], v[166:167]
	v_add_f64_e32 v[2:3], v[2:3], v[58:59]
	v_mul_f64_e32 v[58:59], s[38:39], v[94:95]
	v_add_f64_e32 v[0:1], v[0:1], v[162:163]
	s_delay_alu instid0(VALU_DEP_3) | instskip(SKIP_1) | instid1(VALU_DEP_1)
	v_add_f64_e32 v[2:3], v[36:37], v[2:3]
	v_fma_f64 v[36:37], v[82:83], s[30:31], -v[130:131]
	v_add_f64_e32 v[6:7], v[36:37], v[6:7]
	v_fma_f64 v[36:37], v[84:85], s[48:49], v[136:137]
	s_delay_alu instid0(VALU_DEP_1) | instskip(SKIP_1) | instid1(VALU_DEP_1)
	v_add_f64_e32 v[2:3], v[36:37], v[2:3]
	v_fma_f64 v[36:37], v[86:87], s[40:41], -v[138:139]
	v_add_f64_e32 v[6:7], v[36:37], v[6:7]
	v_fma_f64 v[36:37], v[88:89], s[56:57], v[140:141]
	s_delay_alu instid0(VALU_DEP_1) | instskip(SKIP_1) | instid1(VALU_DEP_1)
	v_add_f64_e32 v[2:3], v[36:37], v[2:3]
	v_fma_f64 v[36:37], v[92:93], s[14:15], -v[142:143]
	v_add_f64_e32 v[6:7], v[36:37], v[6:7]
	v_fma_f64 v[36:37], v[98:99], s[0:1], v[144:145]
	s_delay_alu instid0(VALU_DEP_1) | instskip(SKIP_1) | instid1(VALU_DEP_1)
	v_add_f64_e32 v[2:3], v[36:37], v[2:3]
	v_fma_f64 v[36:37], v[102:103], s[6:7], -v[146:147]
	v_add_f64_e32 v[6:7], v[36:37], v[6:7]
	v_fma_f64 v[36:37], v[104:105], s[20:21], v[148:149]
	s_delay_alu instid0(VALU_DEP_1) | instskip(SKIP_1) | instid1(VALU_DEP_1)
	v_add_f64_e32 v[2:3], v[36:37], v[2:3]
	v_fma_f64 v[36:37], v[108:109], s[16:17], -v[150:151]
	v_add_f64_e32 v[6:7], v[36:37], v[6:7]
	v_fma_f64 v[36:37], v[112:113], s[46:47], v[152:153]
	s_delay_alu instid0(VALU_DEP_1) | instskip(SKIP_1) | instid1(VALU_DEP_1)
	v_add_f64_e32 v[38:39], v[36:37], v[2:3]
	v_mul_f64_e32 v[2:3], s[46:47], v[132:133]
	v_fma_f64 v[36:37], v[116:117], s[38:39], -v[2:3]
	v_fma_f64 v[2:3], v[116:117], s[38:39], v[2:3]
	s_delay_alu instid0(VALU_DEP_2) | instskip(SKIP_1) | instid1(VALU_DEP_1)
	v_add_f64_e32 v[36:37], v[36:37], v[6:7]
	v_mul_f64_e32 v[6:7], s[30:31], v[94:95]
	v_fma_f64 v[40:41], v[76:77], s[24:25], v[6:7]
	v_fma_f64 v[6:7], v[76:77], s[54:55], v[6:7]
	s_delay_alu instid0(VALU_DEP_2) | instskip(SKIP_1) | instid1(VALU_DEP_3)
	v_add_f64_e32 v[40:41], v[40:41], v[42:43]
	v_fma_f64 v[42:43], v[78:79], s[30:31], -v[60:61]
	v_add_f64_e32 v[6:7], v[6:7], v[74:75]
	v_fma_f64 v[60:61], v[78:79], s[30:31], v[60:61]
	s_delay_alu instid0(VALU_DEP_3) | instskip(SKIP_2) | instid1(VALU_DEP_4)
	v_add_f64_e32 v[42:43], v[42:43], v[46:47]
	v_fma_f64 v[46:47], v[80:81], s[48:49], v[62:63]
	v_fma_f64 v[62:63], v[80:81], s[34:35], v[62:63]
	v_add_f64_e32 v[60:61], v[60:61], v[160:161]
	s_delay_alu instid0(VALU_DEP_3) | instskip(SKIP_1) | instid1(VALU_DEP_4)
	v_add_f64_e32 v[40:41], v[46:47], v[40:41]
	v_fma_f64 v[46:47], v[82:83], s[40:41], -v[154:155]
	v_add_f64_e32 v[6:7], v[62:63], v[6:7]
	v_fma_f64 v[62:63], v[82:83], s[40:41], v[154:155]
	s_delay_alu instid0(VALU_DEP_3) | instskip(SKIP_1) | instid1(VALU_DEP_3)
	v_add_f64_e32 v[42:43], v[46:47], v[42:43]
	v_fma_f64 v[46:47], v[84:85], s[44:45], v[156:157]
	v_add_f64_e32 v[60:61], v[62:63], v[60:61]
	v_fma_f64 v[62:63], v[84:85], s[0:1], v[156:157]
	s_delay_alu instid0(VALU_DEP_3) | instskip(SKIP_1) | instid1(VALU_DEP_3)
	v_add_f64_e32 v[40:41], v[46:47], v[40:41]
	v_fma_f64 v[46:47], v[86:87], s[6:7], -v[158:159]
	v_add_f64_e32 v[6:7], v[62:63], v[6:7]
	v_fma_f64 v[62:63], v[86:87], s[6:7], v[158:159]
	s_delay_alu instid0(VALU_DEP_3) | instskip(SKIP_1) | instid1(VALU_DEP_3)
	v_add_f64_e32 v[42:43], v[46:47], v[42:43]
	v_fma_f64 v[46:47], v[88:89], s[26:27], v[164:165]
	v_add_f64_e32 v[60:61], v[62:63], v[60:61]
	v_fma_f64 v[62:63], v[88:89], s[42:43], v[164:165]
	s_delay_alu instid0(VALU_DEP_3) | instskip(SKIP_1) | instid1(VALU_DEP_3)
	;; [unrolled: 10-line block ×5, first 2 shown]
	v_add_f64_e32 v[42:43], v[42:43], v[40:41]
	v_fma_f64 v[40:41], v[116:117], s[14:15], -v[180:181]
	v_add_f64_e32 v[62:63], v[62:63], v[6:7]
	v_fma_f64 v[6:7], v[80:81], s[24:25], v[126:127]
	s_delay_alu instid0(VALU_DEP_3) | instskip(SKIP_2) | instid1(VALU_DEP_4)
	v_add_f64_e32 v[40:41], v[40:41], v[46:47]
	v_fma_f64 v[46:47], v[76:77], s[36:37], v[58:59]
	v_fma_f64 v[58:59], v[76:77], s[46:47], v[58:59]
	v_add_f64_e32 v[0:1], v[6:7], v[0:1]
	v_fma_f64 v[6:7], v[86:87], s[40:41], v[138:139]
	s_delay_alu instid0(VALU_DEP_4) | instskip(SKIP_2) | instid1(VALU_DEP_2)
	v_add_f64_e32 v[46:47], v[46:47], v[72:73]
	v_mul_f64_e32 v[72:73], s[36:37], v[90:91]
	v_add_f64_e32 v[58:59], v[58:59], v[70:71]
	v_fma_f64 v[48:49], v[78:79], s[38:39], -v[72:73]
	s_delay_alu instid0(VALU_DEP_1) | instskip(SKIP_1) | instid1(VALU_DEP_1)
	v_add_f64_e32 v[44:45], v[48:49], v[44:45]
	v_fma_f64 v[48:49], v[80:81], s[56:57], v[182:183]
	v_add_f64_e32 v[46:47], v[48:49], v[46:47]
	v_fma_f64 v[48:49], v[82:83], s[14:15], -v[184:185]
	s_delay_alu instid0(VALU_DEP_1) | instskip(SKIP_1) | instid1(VALU_DEP_1)
	v_add_f64_e32 v[44:45], v[48:49], v[44:45]
	v_fma_f64 v[48:49], v[84:85], s[26:27], v[186:187]
	;; [unrolled: 5-line block ×6, first 2 shown]
	v_add_f64_e32 v[46:47], v[48:49], v[46:47]
	v_fma_f64 v[48:49], v[116:117], s[22:23], -v[205:206]
	s_delay_alu instid0(VALU_DEP_1) | instskip(SKIP_2) | instid1(VALU_DEP_2)
	v_add_f64_e32 v[44:45], v[48:49], v[44:45]
	v_fma_f64 v[48:49], v[76:77], s[48:49], v[52:53]
	v_fma_f64 v[52:53], v[76:77], s[34:35], v[52:53]
	v_add_f64_e32 v[48:49], v[48:49], v[66:67]
	v_mul_f64_e32 v[66:67], s[48:49], v[90:91]
	s_delay_alu instid0(VALU_DEP_3) | instskip(NEXT) | instid1(VALU_DEP_2)
	v_add_f64_e32 v[52:53], v[52:53], v[64:65]
	v_fma_f64 v[50:51], v[78:79], s[40:41], -v[66:67]
	v_fma_f64 v[64:65], v[78:79], s[40:41], v[66:67]
	s_delay_alu instid0(VALU_DEP_2) | instskip(SKIP_1) | instid1(VALU_DEP_3)
	v_add_f64_e32 v[50:51], v[50:51], v[68:69]
	v_mul_f64_e32 v[68:69], s[6:7], v[100:101]
	v_add_f64_e32 v[54:55], v[64:65], v[54:55]
	s_delay_alu instid0(VALU_DEP_2) | instskip(SKIP_1) | instid1(VALU_DEP_2)
	v_fma_f64 v[90:91], v[80:81], s[0:1], v[68:69]
	v_fma_f64 v[64:65], v[80:81], s[44:45], v[68:69]
	v_add_f64_e32 v[48:49], v[90:91], v[48:49]
	v_mul_f64_e32 v[90:91], s[0:1], v[96:97]
	s_delay_alu instid0(VALU_DEP_3) | instskip(NEXT) | instid1(VALU_DEP_2)
	v_add_f64_e32 v[52:53], v[64:65], v[52:53]
	v_fma_f64 v[94:95], v[82:83], s[6:7], -v[90:91]
	v_fma_f64 v[64:65], v[82:83], s[6:7], v[90:91]
	s_delay_alu instid0(VALU_DEP_2) | instskip(SKIP_1) | instid1(VALU_DEP_3)
	v_add_f64_e32 v[50:51], v[94:95], v[50:51]
	v_mul_f64_e32 v[94:95], s[38:39], v[110:111]
	v_add_f64_e32 v[54:55], v[64:65], v[54:55]
	s_delay_alu instid0(VALU_DEP_2) | instskip(SKIP_1) | instid1(VALU_DEP_2)
	;; [unrolled: 13-line block ×4, first 2 shown]
	v_fma_f64 v[114:115], v[98:99], s[10:11], v[110:111]
	v_fma_f64 v[64:65], v[98:99], s[56:57], v[110:111]
	v_add_f64_e32 v[48:49], v[114:115], v[48:49]
	v_mul_f64_e32 v[114:115], s[10:11], v[120:121]
	s_delay_alu instid0(VALU_DEP_3) | instskip(NEXT) | instid1(VALU_DEP_2)
	v_add_f64_e32 v[52:53], v[64:65], v[52:53]
	v_fma_f64 v[118:119], v[102:103], s[14:15], -v[114:115]
	v_fma_f64 v[64:65], v[102:103], s[14:15], v[114:115]
	s_delay_alu instid0(VALU_DEP_2) | instskip(SKIP_1) | instid1(VALU_DEP_3)
	v_add_f64_e32 v[50:51], v[118:119], v[50:51]
	v_mul_f64_e32 v[118:119], s[30:31], v[128:129]
	v_add_f64_e32 v[54:55], v[64:65], v[54:55]
	v_mul_f64_e32 v[128:129], s[42:43], v[132:133]
	s_delay_alu instid0(VALU_DEP_3) | instskip(SKIP_1) | instid1(VALU_DEP_3)
	v_fma_f64 v[120:121], v[104:105], s[24:25], v[118:119]
	v_fma_f64 v[64:65], v[104:105], s[54:55], v[118:119]
	;; [unrolled: 1-line block ×3, first 2 shown]
	s_delay_alu instid0(VALU_DEP_3) | instskip(SKIP_3) | instid1(VALU_DEP_3)
	v_add_f64_e32 v[48:49], v[120:121], v[48:49]
	v_mul_f64_e32 v[120:121], s[24:25], v[124:125]
	v_mul_f64_e32 v[124:125], s[28:29], v[134:135]
	v_add_f64_e32 v[52:53], v[64:65], v[52:53]
	v_fma_f64 v[64:65], v[108:109], s[30:31], v[120:121]
	v_fma_f64 v[122:123], v[108:109], s[30:31], -v[120:121]
	s_delay_alu instid0(VALU_DEP_2) | instskip(SKIP_1) | instid1(VALU_DEP_3)
	v_add_f64_e32 v[64:65], v[64:65], v[54:55]
	v_fma_f64 v[54:55], v[112:113], s[26:27], v[124:125]
	v_add_f64_e32 v[122:123], v[122:123], v[50:51]
	v_fma_f64 v[50:51], v[112:113], s[42:43], v[124:125]
	s_delay_alu instid0(VALU_DEP_3)
	v_add_f64_e32 v[54:55], v[54:55], v[52:53]
	v_add_f64_e32 v[52:53], v[66:67], v[64:65]
	v_fma_f64 v[64:65], v[78:79], s[38:39], v[72:73]
	v_fma_f64 v[66:67], v[116:117], s[22:23], v[205:206]
	v_add_f64_e32 v[50:51], v[50:51], v[48:49]
	v_fma_f64 v[48:49], v[116:117], s[28:29], -v[128:129]
	s_delay_alu instid0(VALU_DEP_4) | instskip(SKIP_1) | instid1(VALU_DEP_3)
	v_add_f64_e32 v[56:57], v[64:65], v[56:57]
	v_fma_f64 v[64:65], v[80:81], s[10:11], v[182:183]
	v_add_f64_e32 v[48:49], v[48:49], v[122:123]
	s_delay_alu instid0(VALU_DEP_2) | instskip(SKIP_1) | instid1(VALU_DEP_1)
	v_add_f64_e32 v[58:59], v[64:65], v[58:59]
	v_fma_f64 v[64:65], v[82:83], s[14:15], v[184:185]
	v_add_f64_e32 v[56:57], v[64:65], v[56:57]
	v_fma_f64 v[64:65], v[84:85], s[42:43], v[186:187]
	s_delay_alu instid0(VALU_DEP_1) | instskip(SKIP_1) | instid1(VALU_DEP_1)
	v_add_f64_e32 v[58:59], v[64:65], v[58:59]
	v_fma_f64 v[64:65], v[86:87], s[28:29], v[188:189]
	v_add_f64_e32 v[56:57], v[64:65], v[56:57]
	v_fma_f64 v[64:65], v[88:89], s[54:55], v[190:191]
	s_delay_alu instid0(VALU_DEP_1) | instskip(SKIP_1) | instid1(VALU_DEP_1)
	;; [unrolled: 5-line block ×4, first 2 shown]
	v_add_f64_e32 v[58:59], v[64:65], v[58:59]
	v_fma_f64 v[64:65], v[108:109], s[6:7], v[200:201]
	v_add_f64_e32 v[56:57], v[64:65], v[56:57]
	v_fma_f64 v[64:65], v[112:113], s[52:53], v[202:203]
	s_delay_alu instid0(VALU_DEP_2) | instskip(NEXT) | instid1(VALU_DEP_2)
	v_add_f64_e32 v[56:57], v[66:67], v[56:57]
	v_add_f64_e32 v[58:59], v[64:65], v[58:59]
	v_fma_f64 v[64:65], v[116:117], s[14:15], v[180:181]
	v_fma_f64 v[66:67], v[84:85], s[34:35], v[136:137]
	s_delay_alu instid0(VALU_DEP_2) | instskip(SKIP_1) | instid1(VALU_DEP_3)
	v_add_f64_e32 v[60:61], v[64:65], v[60:61]
	v_fma_f64 v[64:65], v[82:83], s[30:31], v[130:131]
	v_add_f64_e32 v[0:1], v[66:67], v[0:1]
	v_fma_f64 v[66:67], v[92:93], s[14:15], v[142:143]
	s_delay_alu instid0(VALU_DEP_3) | instskip(SKIP_1) | instid1(VALU_DEP_2)
	v_add_f64_e32 v[4:5], v[64:65], v[4:5]
	v_fma_f64 v[64:65], v[88:89], s[10:11], v[140:141]
	v_add_f64_e32 v[4:5], v[6:7], v[4:5]
	v_fma_f64 v[6:7], v[98:99], s[44:45], v[144:145]
	s_delay_alu instid0(VALU_DEP_3) | instskip(SKIP_1) | instid1(VALU_DEP_4)
	v_add_f64_e32 v[0:1], v[64:65], v[0:1]
	v_fma_f64 v[64:65], v[102:103], s[6:7], v[146:147]
	v_add_f64_e32 v[4:5], v[66:67], v[4:5]
	v_fma_f64 v[66:67], v[104:105], s[50:51], v[148:149]
	s_delay_alu instid0(VALU_DEP_4) | instskip(SKIP_1) | instid1(VALU_DEP_4)
	v_add_f64_e32 v[0:1], v[6:7], v[0:1]
	v_fma_f64 v[6:7], v[108:109], s[16:17], v[150:151]
	v_add_f64_e32 v[4:5], v[64:65], v[4:5]
	v_fma_f64 v[64:65], v[112:113], s[36:37], v[152:153]
	s_delay_alu instid0(VALU_DEP_4) | instskip(NEXT) | instid1(VALU_DEP_3)
	v_add_f64_e32 v[0:1], v[66:67], v[0:1]
	v_add_f64_e32 v[4:5], v[6:7], v[4:5]
	s_delay_alu instid0(VALU_DEP_2) | instskip(SKIP_1) | instid1(VALU_DEP_1)
	v_add_f64_e32 v[66:67], v[64:65], v[0:1]
	v_mul_lo_u16 v0, v226, 17
	v_and_b32_e32 v0, 0xffff, v0
	s_delay_alu instid0(VALU_DEP_1)
	v_add_lshl_u32 v0, v204, v0, 4
	v_add_f64_e32 v[64:65], v[2:3], v[4:5]
	ds_store_b128 v0, v[12:15]
	ds_store_b128 v0, v[28:31] offset:16
	ds_store_b128 v0, v[32:35] offset:32
	;; [unrolled: 1-line block ×16, first 2 shown]
.LBB0_7:
	s_or_b32 exec_lo, exec_lo, s33
	v_and_b32_e32 v0, 0xff, v226
	v_add_co_u32 v112, null, 0x55, v226
	s_load_b128 s[4:7], s[4:5], 0x0
	global_wb scope:SCOPE_SE
	s_wait_dscnt 0x0
	v_mul_lo_u16 v0, 0xf1, v0
	s_wait_kmcnt 0x0
	s_barrier_signal -1
	s_barrier_wait -1
	global_inv scope:SCOPE_SE
	v_and_b32_e32 v68, 0xff, v112
	v_lshrrev_b16 v56, 12, v0
	v_add_co_u32 v128, null, 0xaa, v226
	v_add_lshl_u32 v228, v204, v226, 4
	s_mov_b32 s0, 0xe8584caa
	s_delay_alu instid0(VALU_DEP_3) | instskip(NEXT) | instid1(VALU_DEP_3)
	v_mul_lo_u16 v0, v56, 17
	v_and_b32_e32 v86, 0xff, v128
	s_mov_b32 s1, 0x3febb67a
	s_mov_b32 s11, 0xbfebb67a
	s_wait_alu 0xfffe
	s_mov_b32 s10, s0
	v_sub_nc_u16 v0, v226, v0
	s_mov_b32 s16, 0x134454ff
	s_mov_b32 s17, 0x3fee6f0e
	;; [unrolled: 1-line block ×3, first 2 shown]
	s_wait_alu 0xfffe
	s_mov_b32 s18, s16
	v_and_b32_e32 v57, 0xff, v0
	s_mov_b32 s15, 0xbfe2cf23
	s_mov_b32 s20, 0x372fe950
	;; [unrolled: 1-line block ×3, first 2 shown]
	v_lshl_add_u32 v234, v226, 4, v233
	v_lshlrev_b32_e32 v0, 5, v57
	s_clause 0x1
	global_load_b128 v[8:11], v0, s[2:3]
	global_load_b128 v[12:15], v0, s[2:3] offset:16
	v_mul_lo_u16 v0, 0xf1, v68
	s_delay_alu instid0(VALU_DEP_1) | instskip(NEXT) | instid1(VALU_DEP_1)
	v_lshrrev_b16 v58, 12, v0
	v_mul_lo_u16 v0, v58, 17
	s_delay_alu instid0(VALU_DEP_1) | instskip(NEXT) | instid1(VALU_DEP_1)
	v_sub_nc_u16 v0, v112, v0
	v_and_b32_e32 v59, 0xff, v0
	s_delay_alu instid0(VALU_DEP_1) | instskip(SKIP_4) | instid1(VALU_DEP_1)
	v_lshlrev_b32_e32 v0, 5, v59
	s_clause 0x1
	global_load_b128 v[16:19], v0, s[2:3]
	global_load_b128 v[20:23], v0, s[2:3] offset:16
	v_mul_lo_u16 v0, 0xf1, v86
	v_lshrrev_b16 v60, 12, v0
	s_delay_alu instid0(VALU_DEP_1) | instskip(NEXT) | instid1(VALU_DEP_1)
	v_mul_lo_u16 v0, v60, 17
	v_sub_nc_u16 v0, v128, v0
	s_delay_alu instid0(VALU_DEP_1) | instskip(NEXT) | instid1(VALU_DEP_1)
	v_and_b32_e32 v61, 0xff, v0
	v_lshlrev_b32_e32 v0, 5, v61
	s_clause 0x1
	global_load_b128 v[24:27], v0, s[2:3]
	global_load_b128 v[28:31], v0, s[2:3] offset:16
	ds_load_b128 v[36:39], v228 offset:6800
	ds_load_b128 v[32:35], v228 offset:13600
	ds_load_b128 v[62:65], v228 offset:5440
	ds_load_b128 v[44:47], v228 offset:8160
	ds_load_b128 v[40:43], v228 offset:14960
	s_wait_loadcnt_dscnt 0x504
	v_mul_f64_e32 v[0:1], v[38:39], v[10:11]
	v_mul_f64_e32 v[2:3], v[36:37], v[10:11]
	scratch_store_b128 off, v[8:11], off    ; 16-byte Folded Spill
	s_wait_loadcnt 0x4
	scratch_store_b128 off, v[12:15], off offset:16 ; 16-byte Folded Spill
	s_wait_dscnt 0x3
	v_mul_f64_e32 v[4:5], v[34:35], v[14:15]
	v_mul_f64_e32 v[6:7], v[32:33], v[14:15]
	s_wait_loadcnt 0x3
	scratch_store_b128 off, v[16:19], off offset:32 ; 16-byte Folded Spill
	s_wait_loadcnt 0x2
	scratch_store_b128 off, v[20:23], off offset:48 ; 16-byte Folded Spill
	s_wait_dscnt 0x0
	v_mul_f64_e32 v[14:15], v[40:41], v[22:23]
	v_fma_f64 v[0:1], v[36:37], v[8:9], -v[0:1]
	v_fma_f64 v[2:3], v[38:39], v[8:9], v[2:3]
	ds_load_b128 v[36:39], v228 offset:9520
	v_mul_f64_e32 v[8:9], v[46:47], v[18:19]
	v_mul_f64_e32 v[10:11], v[44:45], v[18:19]
	v_fma_f64 v[4:5], v[32:33], v[12:13], -v[4:5]
	v_fma_f64 v[6:7], v[34:35], v[12:13], v[6:7]
	v_mul_f64_e32 v[12:13], v[42:43], v[22:23]
	s_wait_loadcnt_dscnt 0x100
	v_mul_f64_e32 v[18:19], v[36:37], v[26:27]
	scratch_store_b128 off, v[24:27], off offset:64 ; 16-byte Folded Spill
	v_fma_f64 v[14:15], v[42:43], v[20:21], v[14:15]
	v_fma_f64 v[8:9], v[44:45], v[16:17], -v[8:9]
	v_fma_f64 v[10:11], v[46:47], v[16:17], v[10:11]
	v_mul_f64_e32 v[16:17], v[38:39], v[26:27]
	v_fma_f64 v[12:13], v[40:41], v[20:21], -v[12:13]
	v_fma_f64 v[18:19], v[38:39], v[24:25], v[18:19]
	s_delay_alu instid0(VALU_DEP_3)
	v_fma_f64 v[16:17], v[36:37], v[24:25], -v[16:17]
	ds_load_b128 v[32:35], v228 offset:16320
	ds_load_b128 v[36:39], v228 offset:17680
	v_add_co_u32 v24, null, 0xff, v226
	s_wait_loadcnt 0x0
	scratch_store_b128 off, v[28:31], off offset:80 ; 16-byte Folded Spill
	v_and_b32_e32 v25, 0xffff, v24
	s_delay_alu instid0(VALU_DEP_1) | instskip(NEXT) | instid1(VALU_DEP_1)
	v_mul_u32_u24_e32 v25, 0xf0f1, v25
	v_lshrrev_b32_e32 v25, 20, v25
	s_wait_dscnt 0x1
	v_mul_f64_e32 v[20:21], v[34:35], v[30:31]
	v_mul_f64_e32 v[22:23], v[32:33], v[30:31]
	s_delay_alu instid0(VALU_DEP_3) | instskip(NEXT) | instid1(VALU_DEP_1)
	v_mul_lo_u16 v26, v25, 17
	v_sub_nc_u16 v24, v24, v26
	s_delay_alu instid0(VALU_DEP_1) | instskip(NEXT) | instid1(VALU_DEP_1)
	v_lshlrev_b16 v26, 1, v24
	v_and_b32_e32 v26, 0xffff, v26
	s_delay_alu instid0(VALU_DEP_1)
	v_lshlrev_b32_e32 v26, 4, v26
	v_fma_f64 v[20:21], v[32:33], v[28:29], -v[20:21]
	v_fma_f64 v[22:23], v[34:35], v[28:29], v[22:23]
	s_clause 0x1
	global_load_b128 v[40:43], v26, s[2:3]
	global_load_b128 v[26:29], v26, s[2:3] offset:16
	ds_load_b128 v[32:35], v228 offset:10880
	ds_load_b128 v[69:72], v228 offset:12240
	s_wait_loadcnt_dscnt 0x101
	v_mul_f64_e32 v[48:49], v[34:35], v[42:43]
	scratch_store_b128 off, v[40:43], off offset:164 ; 16-byte Folded Spill
	s_wait_loadcnt 0x0
	scratch_store_b128 off, v[26:29], off offset:148 ; 16-byte Folded Spill
	v_fma_f64 v[66:67], v[32:33], v[40:41], -v[48:49]
	v_mul_f64_e32 v[32:33], v[32:33], v[42:43]
	s_delay_alu instid0(VALU_DEP_1) | instskip(SKIP_1) | instid1(VALU_DEP_1)
	v_fma_f64 v[103:104], v[34:35], v[40:41], v[32:33]
	v_mul_f64_e32 v[32:33], v[38:39], v[28:29]
	v_fma_f64 v[105:106], v[36:37], v[26:27], -v[32:33]
	v_mul_f64_e32 v[32:33], v[36:37], v[28:29]
	s_delay_alu instid0(VALU_DEP_1) | instskip(SKIP_1) | instid1(VALU_DEP_1)
	v_fma_f64 v[107:108], v[38:39], v[26:27], v[32:33]
	v_add_co_u32 v26, null, 0x154, v226
	v_and_b32_e32 v27, 0xffff, v26
	s_delay_alu instid0(VALU_DEP_1) | instskip(NEXT) | instid1(VALU_DEP_1)
	v_mul_u32_u24_e32 v27, 0xf0f1, v27
	v_lshrrev_b32_e32 v27, 20, v27
	s_delay_alu instid0(VALU_DEP_1) | instskip(NEXT) | instid1(VALU_DEP_1)
	v_mul_lo_u16 v28, v27, 17
	v_sub_nc_u16 v26, v26, v28
	s_delay_alu instid0(VALU_DEP_1) | instskip(NEXT) | instid1(VALU_DEP_1)
	v_lshlrev_b16 v28, 1, v26
	v_and_b32_e32 v28, 0xffff, v28
	s_delay_alu instid0(VALU_DEP_1)
	v_lshlrev_b32_e32 v28, 4, v28
	s_clause 0x1
	global_load_b128 v[34:37], v28, s[2:3]
	global_load_b128 v[28:31], v28, s[2:3] offset:16
	s_wait_loadcnt_dscnt 0x100
	v_mul_f64_e32 v[32:33], v[71:72], v[36:37]
	scratch_store_b128 off, v[34:37], off offset:196 ; 16-byte Folded Spill
	s_wait_loadcnt 0x0
	scratch_store_b128 off, v[28:31], off offset:180 ; 16-byte Folded Spill
	v_fma_f64 v[113:114], v[69:70], v[34:35], -v[32:33]
	v_mul_f64_e32 v[32:33], v[69:70], v[36:37]
	v_add_f64_e32 v[69:70], v[0:1], v[4:5]
	s_delay_alu instid0(VALU_DEP_2) | instskip(SKIP_3) | instid1(VALU_DEP_1)
	v_fma_f64 v[115:116], v[71:72], v[34:35], v[32:33]
	ds_load_b128 v[32:35], v228 offset:19040
	s_wait_dscnt 0x0
	v_mul_f64_e32 v[36:37], v[34:35], v[30:31]
	v_fma_f64 v[117:118], v[32:33], v[28:29], -v[36:37]
	v_mul_f64_e32 v[32:33], v[32:33], v[30:31]
	s_delay_alu instid0(VALU_DEP_1)
	v_fma_f64 v[119:120], v[34:35], v[28:29], v[32:33]
	ds_load_b128 v[32:35], v228
	ds_load_b128 v[36:39], v228 offset:1360
	ds_load_b128 v[87:90], v228 offset:2720
	;; [unrolled: 1-line block ×3, first 2 shown]
	global_wb scope:SCOPE_SE
	s_wait_storecnt_dscnt 0x0
	s_barrier_signal -1
	s_barrier_wait -1
	global_inv scope:SCOPE_SE
	v_fma_f64 v[71:72], v[69:70], -0.5, v[32:33]
	v_add_f64_e32 v[69:70], v[2:3], v[6:7]
	v_add_f64_e32 v[32:33], v[32:33], v[0:1]
	v_add_f64_e64 v[0:1], v[0:1], -v[4:5]
	s_delay_alu instid0(VALU_DEP_3) | instskip(SKIP_4) | instid1(VALU_DEP_4)
	v_fma_f64 v[75:76], v[69:70], -0.5, v[34:35]
	v_add_f64_e32 v[34:35], v[34:35], v[2:3]
	v_add_f64_e64 v[2:3], v[2:3], -v[6:7]
	v_add_f64_e32 v[32:33], v[32:33], v[4:5]
	v_add_f64_e32 v[4:5], v[38:39], v[10:11]
	v_add_f64_e32 v[34:35], v[34:35], v[6:7]
	s_delay_alu instid0(VALU_DEP_4)
	v_fma_f64 v[69:70], v[2:3], s[0:1], v[71:72]
	v_fma_f64 v[73:74], v[2:3], s[10:11], v[71:72]
	;; [unrolled: 1-line block ×4, first 2 shown]
	v_add_f64_e32 v[0:1], v[8:9], v[12:13]
	v_add_f64_e32 v[2:3], v[10:11], v[14:15]
	v_add_f64_e64 v[10:11], v[10:11], -v[14:15]
	v_add_f64_e32 v[6:7], v[36:37], v[8:9]
	s_delay_alu instid0(VALU_DEP_4) | instskip(NEXT) | instid1(VALU_DEP_4)
	v_fma_f64 v[0:1], v[0:1], -0.5, v[36:37]
	v_fma_f64 v[2:3], v[2:3], -0.5, v[38:39]
	v_add_f64_e32 v[38:39], v[4:5], v[14:15]
	v_add_f64_e64 v[4:5], v[8:9], -v[12:13]
	v_add_f64_e64 v[8:9], v[18:19], -v[22:23]
	v_add_f64_e32 v[36:37], v[6:7], v[12:13]
	v_add_f64_e32 v[6:7], v[87:88], v[16:17]
	v_fma_f64 v[77:78], v[10:11], s[0:1], v[0:1]
	v_fma_f64 v[81:82], v[10:11], s[10:11], v[0:1]
	v_add_f64_e32 v[0:1], v[16:17], v[20:21]
	v_fma_f64 v[79:80], v[4:5], s[10:11], v[2:3]
	v_fma_f64 v[83:84], v[4:5], s[0:1], v[2:3]
	v_add_f64_e32 v[2:3], v[18:19], v[22:23]
	v_add_f64_e32 v[4:5], v[89:90], v[18:19]
	v_fma_f64 v[0:1], v[0:1], -0.5, v[87:88]
	v_add_f64_e32 v[87:88], v[6:7], v[20:21]
	v_add_f64_e32 v[6:7], v[91:92], v[66:67]
	v_fma_f64 v[2:3], v[2:3], -0.5, v[89:90]
	v_add_f64_e32 v[89:90], v[4:5], v[22:23]
	v_add_f64_e64 v[4:5], v[16:17], -v[20:21]
	v_fma_f64 v[95:96], v[8:9], s[0:1], v[0:1]
	v_fma_f64 v[99:100], v[8:9], s[10:11], v[0:1]
	v_add_f64_e32 v[0:1], v[66:67], v[105:106]
	v_add_f64_e64 v[8:9], v[103:104], -v[107:108]
	v_fma_f64 v[97:98], v[4:5], s[10:11], v[2:3]
	v_fma_f64 v[101:102], v[4:5], s[0:1], v[2:3]
	v_add_f64_e32 v[2:3], v[103:104], v[107:108]
	v_add_f64_e32 v[4:5], v[93:94], v[103:104]
	v_fma_f64 v[0:1], v[0:1], -0.5, v[91:92]
	v_add_f64_e32 v[91:92], v[6:7], v[105:106]
	v_add_f64_e32 v[6:7], v[62:63], v[113:114]
	v_fma_f64 v[2:3], v[2:3], -0.5, v[93:94]
	v_add_f64_e32 v[93:94], v[4:5], v[107:108]
	v_add_f64_e64 v[4:5], v[66:67], -v[105:106]
	v_fma_f64 v[103:104], v[8:9], s[0:1], v[0:1]
	v_fma_f64 v[107:108], v[8:9], s[10:11], v[0:1]
	v_add_f64_e32 v[0:1], v[113:114], v[117:118]
	v_add_f64_e64 v[8:9], v[115:116], -v[119:120]
	v_fma_f64 v[105:106], v[4:5], s[10:11], v[2:3]
	v_fma_f64 v[109:110], v[4:5], s[0:1], v[2:3]
	v_add_f64_e32 v[2:3], v[115:116], v[119:120]
	v_add_f64_e32 v[4:5], v[64:65], v[115:116]
	v_fma_f64 v[0:1], v[0:1], -0.5, v[62:63]
	v_add_f64_e32 v[62:63], v[6:7], v[117:118]
	s_delay_alu instid0(VALU_DEP_4) | instskip(NEXT) | instid1(VALU_DEP_4)
	v_fma_f64 v[2:3], v[2:3], -0.5, v[64:65]
	v_add_f64_e32 v[64:65], v[4:5], v[119:120]
	v_add_f64_e64 v[4:5], v[113:114], -v[117:118]
	v_fma_f64 v[113:114], v[8:9], s[0:1], v[0:1]
	v_fma_f64 v[117:118], v[8:9], s[10:11], v[0:1]
	v_and_b32_e32 v0, 0xffff, v56
	s_delay_alu instid0(VALU_DEP_1) | instskip(SKIP_3) | instid1(VALU_DEP_4)
	v_mul_u32_u24_e32 v0, 51, v0
	v_fma_f64 v[115:116], v[4:5], s[10:11], v[2:3]
	v_fma_f64 v[119:120], v[4:5], s[0:1], v[2:3]
	v_add_co_u32 v1, s0, 0xffffffcd, v226
	v_add_nc_u32_e32 v0, v0, v57
	s_wait_alu 0xf1ff
	v_add_co_ci_u32_e64 v2, null, 0, -1, s0
	v_cmp_gt_u16_e64 s0, 51, v226
	s_mov_b32 s10, 0x4755a5e
	v_add_lshl_u32 v0, v204, v0, 4
	ds_store_b128 v0, v[32:35]
	ds_store_b128 v0, v[69:72] offset:272
	scratch_store_b32 off, v0, off offset:144 ; 4-byte Folded Spill
	ds_store_b128 v0, v[73:76] offset:544
	v_and_b32_e32 v0, 0xffff, v58
	s_wait_alu 0xf1ff
	v_cndmask_b32_e64 v85, v2, 0, s0
	s_mov_b32 s11, 0x3fe2cf23
	s_wait_alu 0xfffe
	s_mov_b32 s14, s10
	v_mul_u32_u24_e32 v0, 51, v0
	s_delay_alu instid0(VALU_DEP_1) | instskip(NEXT) | instid1(VALU_DEP_1)
	v_add_nc_u32_e32 v0, v0, v59
	v_add_lshl_u32 v0, v204, v0, 4
	ds_store_b128 v0, v[36:39]
	ds_store_b128 v0, v[77:80] offset:272
	scratch_store_b32 off, v0, off offset:140 ; 4-byte Folded Spill
	ds_store_b128 v0, v[81:84] offset:544
	v_and_b32_e32 v0, 0xffff, v60
	v_cndmask_b32_e64 v84, v1, v226, s0
	s_delay_alu instid0(VALU_DEP_2) | instskip(NEXT) | instid1(VALU_DEP_1)
	v_mul_u32_u24_e32 v0, 51, v0
	v_add_nc_u32_e32 v0, v0, v61
	s_delay_alu instid0(VALU_DEP_1)
	v_add_lshl_u32 v0, v204, v0, 4
	ds_store_b128 v0, v[87:90]
	ds_store_b128 v0, v[95:98] offset:272
	scratch_store_b32 off, v0, off offset:136 ; 4-byte Folded Spill
	ds_store_b128 v0, v[99:102] offset:544
	v_mad_u16 v0, v25, 51, v24
	s_delay_alu instid0(VALU_DEP_1) | instskip(NEXT) | instid1(VALU_DEP_1)
	v_and_b32_e32 v0, 0xffff, v0
	v_add_lshl_u32 v0, v204, v0, 4
	ds_store_b128 v0, v[91:94]
	ds_store_b128 v0, v[103:106] offset:272
	scratch_store_b32 off, v0, off offset:128 ; 4-byte Folded Spill
	ds_store_b128 v0, v[107:110] offset:544
	v_mad_u16 v0, v27, 51, v26
	s_delay_alu instid0(VALU_DEP_1) | instskip(NEXT) | instid1(VALU_DEP_1)
	v_and_b32_e32 v0, 0xffff, v0
	v_add_lshl_u32 v3, v204, v0, 4
	v_lshlrev_b64_e32 v[0:1], 6, v[84:85]
	ds_store_b128 v3, v[62:65]
	ds_store_b128 v3, v[113:116] offset:272
	v_add_co_u32 v64, s0, s2, v0
	s_wait_alu 0xf1ff
	v_add_co_ci_u32_e64 v65, s0, s3, v1, s0
	scratch_store_b32 off, v3, off offset:132 ; 4-byte Folded Spill
	ds_store_b128 v3, v[117:120] offset:544
	global_wb scope:SCOPE_SE
	s_wait_storecnt_dscnt 0x0
	s_barrier_signal -1
	s_barrier_wait -1
	global_inv scope:SCOPE_SE
	s_clause 0x1
	global_load_b128 v[4:7], v[64:65], off offset:544
	global_load_b128 v[8:11], v[64:65], off offset:560
	ds_load_b128 v[56:59], v228 offset:4080
	ds_load_b128 v[104:107], v228 offset:2720
	v_cmp_lt_u16_e64 s0, 50, v226
	s_wait_loadcnt_dscnt 0x101
	v_mul_f64_e32 v[0:1], v[58:59], v[6:7]
	v_mul_f64_e32 v[2:3], v[56:57], v[6:7]
	scratch_store_b128 off, v[4:7], off offset:96 ; 16-byte Folded Spill
	v_fma_f64 v[0:1], v[56:57], v[4:5], -v[0:1]
	v_fma_f64 v[2:3], v[58:59], v[4:5], v[2:3]
	ds_load_b128 v[56:59], v228 offset:8160
	ds_load_b128 v[76:79], v228 offset:9520
	s_wait_loadcnt 0x0
	scratch_store_b128 off, v[8:11], off offset:112 ; 16-byte Folded Spill
	s_clause 0x1
	global_load_b128 v[12:15], v[64:65], off offset:592
	global_load_b128 v[16:19], v[64:65], off offset:576
	s_wait_dscnt 0x1
	v_mul_f64_e32 v[4:5], v[58:59], v[10:11]
	v_mul_f64_e32 v[6:7], v[56:57], v[10:11]
	s_delay_alu instid0(VALU_DEP_2) | instskip(NEXT) | instid1(VALU_DEP_2)
	v_fma_f64 v[4:5], v[56:57], v[8:9], -v[4:5]
	v_fma_f64 v[6:7], v[58:59], v[8:9], v[6:7]
	ds_load_b128 v[56:59], v228 offset:16320
	ds_load_b128 v[87:90], v228 offset:17680
	s_wait_loadcnt_dscnt 0x101
	v_mul_f64_e32 v[8:9], v[56:57], v[14:15]
	v_mul_f64_e32 v[10:11], v[58:59], v[14:15]
	scratch_store_b128 off, v[12:15], off offset:228 ; 16-byte Folded Spill
	v_fma_f64 v[8:9], v[58:59], v[12:13], v[8:9]
	v_fma_f64 v[10:11], v[56:57], v[12:13], -v[10:11]
	ds_load_b128 v[56:59], v228 offset:12240
	ds_load_b128 v[96:99], v228 offset:10880
	s_wait_loadcnt 0x0
	scratch_store_b128 off, v[16:19], off offset:244 ; 16-byte Folded Spill
	s_wait_dscnt 0x1
	v_mul_f64_e32 v[12:13], v[58:59], v[18:19]
	v_mul_f64_e32 v[14:15], v[56:57], v[18:19]
	v_add_f64_e64 v[129:130], v[2:3], -v[8:9]
	v_add_f64_e64 v[133:134], v[0:1], -v[10:11]
	s_delay_alu instid0(VALU_DEP_4) | instskip(NEXT) | instid1(VALU_DEP_4)
	v_fma_f64 v[12:13], v[56:57], v[16:17], -v[12:13]
	v_fma_f64 v[14:15], v[58:59], v[16:17], v[14:15]
	v_mul_lo_u16 v16, 0xa1, v68
	s_delay_alu instid0(VALU_DEP_1) | instskip(NEXT) | instid1(VALU_DEP_1)
	v_lshrrev_b16 v24, 13, v16
	v_mul_lo_u16 v16, v24, 51
	s_delay_alu instid0(VALU_DEP_1) | instskip(NEXT) | instid1(VALU_DEP_1)
	v_sub_nc_u16 v16, v112, v16
	v_and_b32_e32 v25, 0xff, v16
	s_delay_alu instid0(VALU_DEP_1)
	v_lshlrev_b32_e32 v26, 6, v25
	s_clause 0x1
	global_load_b128 v[20:23], v26, s[2:3] offset:544
	global_load_b128 v[27:30], v26, s[2:3] offset:560
	ds_load_b128 v[56:59], v228 offset:5440
	ds_load_b128 v[100:103], v228 offset:6800
	v_add_f64_e32 v[113:114], v[4:5], v[12:13]
	v_add_f64_e64 v[131:132], v[6:7], -v[14:15]
	v_add_f64_e64 v[135:136], v[4:5], -v[12:13]
	s_wait_loadcnt_dscnt 0x101
	v_mul_f64_e32 v[16:17], v[58:59], v[22:23]
	v_mul_f64_e32 v[18:19], v[56:57], v[22:23]
	scratch_store_b128 off, v[20:23], off offset:280 ; 16-byte Folded Spill
	s_wait_loadcnt 0x0
	scratch_store_b128 off, v[27:30], off offset:264 ; 16-byte Folded Spill
	v_mul_f64_e32 v[22:23], v[76:77], v[29:30]
	v_fma_f64 v[16:17], v[56:57], v[20:21], -v[16:17]
	v_fma_f64 v[18:19], v[58:59], v[20:21], v[18:19]
	v_mul_f64_e32 v[20:21], v[78:79], v[29:30]
	s_delay_alu instid0(VALU_DEP_4) | instskip(NEXT) | instid1(VALU_DEP_2)
	v_fma_f64 v[22:23], v[78:79], v[27:28], v[22:23]
	v_fma_f64 v[20:21], v[76:77], v[27:28], -v[20:21]
	s_clause 0x1
	global_load_b128 v[30:33], v26, s[2:3] offset:576
	global_load_b128 v[26:29], v26, s[2:3] offset:592
	ds_load_b128 v[56:59], v228 offset:13600
	ds_load_b128 v[108:111], v228 offset:14960
	s_wait_loadcnt_dscnt 0x101
	v_mul_f64_e32 v[91:92], v[58:59], v[32:33]
	scratch_store_b128 off, v[30:33], off offset:312 ; 16-byte Folded Spill
	s_wait_loadcnt 0x0
	scratch_store_b128 off, v[26:29], off offset:296 ; 16-byte Folded Spill
	v_fma_f64 v[125:126], v[56:57], v[30:31], -v[91:92]
	v_mul_f64_e32 v[56:57], v[56:57], v[32:33]
	s_delay_alu instid0(VALU_DEP_2) | instskip(NEXT) | instid1(VALU_DEP_2)
	v_add_f64_e64 v[147:148], v[20:21], -v[125:126]
	v_fma_f64 v[141:142], v[58:59], v[30:31], v[56:57]
	v_mul_f64_e32 v[56:57], v[89:90], v[28:29]
	s_delay_alu instid0(VALU_DEP_1) | instskip(SKIP_1) | instid1(VALU_DEP_1)
	v_fma_f64 v[143:144], v[87:88], v[26:27], -v[56:57]
	v_mul_f64_e32 v[56:57], v[87:88], v[28:29]
	v_fma_f64 v[145:146], v[89:90], v[26:27], v[56:57]
	v_mul_lo_u16 v26, 0xa1, v86
	s_delay_alu instid0(VALU_DEP_1) | instskip(NEXT) | instid1(VALU_DEP_1)
	v_lshrrev_b16 v26, 13, v26
	v_mul_lo_u16 v27, v26, 51
	s_delay_alu instid0(VALU_DEP_1) | instskip(NEXT) | instid1(VALU_DEP_1)
	v_sub_nc_u16 v27, v128, v27
	v_and_b32_e32 v27, 0xff, v27
	s_delay_alu instid0(VALU_DEP_1)
	v_lshlrev_b32_e32 v28, 6, v27
	s_clause 0x1
	global_load_b128 v[33:36], v28, s[2:3] offset:544
	global_load_b128 v[29:32], v28, s[2:3] offset:560
	s_wait_loadcnt 0x1
	v_mul_f64_e32 v[56:57], v[102:103], v[35:36]
	scratch_store_b128 off, v[33:36], off offset:364 ; 16-byte Folded Spill
	s_wait_loadcnt 0x0
	scratch_store_b128 off, v[29:32], off offset:348 ; 16-byte Folded Spill
	v_fma_f64 v[85:86], v[100:101], v[33:34], -v[56:57]
	v_mul_f64_e32 v[56:57], v[100:101], v[35:36]
	s_delay_alu instid0(VALU_DEP_1) | instskip(SKIP_1) | instid1(VALU_DEP_1)
	v_fma_f64 v[157:158], v[102:103], v[33:34], v[56:57]
	v_mul_f64_e32 v[56:57], v[98:99], v[31:32]
	v_fma_f64 v[159:160], v[96:97], v[29:30], -v[56:57]
	v_mul_f64_e32 v[56:57], v[96:97], v[31:32]
	s_delay_alu instid0(VALU_DEP_1)
	v_fma_f64 v[161:162], v[98:99], v[29:30], v[56:57]
	s_clause 0x1
	global_load_b128 v[32:35], v28, s[2:3] offset:576
	global_load_b128 v[28:31], v28, s[2:3] offset:592
	s_wait_loadcnt_dscnt 0x100
	v_mul_f64_e32 v[56:57], v[110:111], v[34:35]
	scratch_store_b128 off, v[32:35], off offset:400 ; 16-byte Folded Spill
	s_wait_loadcnt 0x0
	scratch_store_b128 off, v[28:31], off offset:384 ; 16-byte Folded Spill
	v_fma_f64 v[163:164], v[108:109], v[32:33], -v[56:57]
	v_mul_f64_e32 v[56:57], v[108:109], v[34:35]
	v_lshl_add_u32 v34, v226, 4, v233
	s_delay_alu instid0(VALU_DEP_2) | instskip(SKIP_3) | instid1(VALU_DEP_1)
	v_fma_f64 v[165:166], v[110:111], v[32:33], v[56:57]
	ds_load_b128 v[56:59], v228 offset:19040
	s_wait_dscnt 0x0
	v_mul_f64_e32 v[108:109], v[58:59], v[30:31]
	v_fma_f64 v[167:168], v[56:57], v[28:29], -v[108:109]
	v_mul_f64_e32 v[56:57], v[56:57], v[30:31]
	s_delay_alu instid0(VALU_DEP_1) | instskip(SKIP_2) | instid1(VALU_DEP_1)
	v_fma_f64 v[169:170], v[58:59], v[28:29], v[56:57]
	v_add_f64_e64 v[56:57], v[0:1], -v[4:5]
	v_add_f64_e64 v[58:59], v[10:11], -v[12:13]
	v_add_f64_e32 v[117:118], v[56:57], v[58:59]
	v_add_f64_e64 v[56:57], v[2:3], -v[6:7]
	v_add_f64_e64 v[58:59], v[8:9], -v[14:15]
	s_delay_alu instid0(VALU_DEP_1)
	v_add_f64_e32 v[119:120], v[56:57], v[58:59]
	ds_load_b128 v[56:59], v228
	ds_load_b128 v[108:111], v228 offset:1360
	global_wb scope:SCOPE_SE
	s_wait_storecnt_dscnt 0x0
	s_barrier_signal -1
	s_barrier_wait -1
	global_inv scope:SCOPE_SE
	v_fma_f64 v[121:122], v[113:114], -0.5, v[56:57]
	v_add_f64_e32 v[113:114], v[6:7], v[14:15]
	s_delay_alu instid0(VALU_DEP_1) | instskip(NEXT) | instid1(VALU_DEP_3)
	v_fma_f64 v[123:124], v[113:114], -0.5, v[58:59]
	v_fma_f64 v[113:114], v[129:130], s[16:17], v[121:122]
	v_fma_f64 v[121:122], v[129:130], s[18:19], v[121:122]
	s_delay_alu instid0(VALU_DEP_3) | instskip(SKIP_1) | instid1(VALU_DEP_4)
	v_fma_f64 v[115:116], v[133:134], s[18:19], v[123:124]
	v_fma_f64 v[123:124], v[133:134], s[16:17], v[123:124]
	v_fma_f64 v[113:114], v[131:132], s[10:11], v[113:114]
	s_wait_alu 0xfffe
	s_delay_alu instid0(VALU_DEP_4) | instskip(NEXT) | instid1(VALU_DEP_4)
	v_fma_f64 v[121:122], v[131:132], s[14:15], v[121:122]
	v_fma_f64 v[115:116], v[135:136], s[14:15], v[115:116]
	s_delay_alu instid0(VALU_DEP_4) | instskip(NEXT) | instid1(VALU_DEP_4)
	v_fma_f64 v[123:124], v[135:136], s[10:11], v[123:124]
	v_fma_f64 v[113:114], v[117:118], s[20:21], v[113:114]
	s_delay_alu instid0(VALU_DEP_4) | instskip(SKIP_4) | instid1(VALU_DEP_4)
	v_fma_f64 v[117:118], v[117:118], s[20:21], v[121:122]
	v_add_f64_e32 v[121:122], v[0:1], v[10:11]
	v_fma_f64 v[115:116], v[119:120], s[20:21], v[115:116]
	v_fma_f64 v[119:120], v[119:120], s[20:21], v[123:124]
	v_add_f64_e32 v[123:124], v[2:3], v[8:9]
	v_fma_f64 v[121:122], v[121:122], -0.5, v[56:57]
	v_add_f64_e32 v[56:57], v[56:57], v[0:1]
	v_add_f64_e64 v[0:1], v[4:5], -v[0:1]
	s_delay_alu instid0(VALU_DEP_4) | instskip(SKIP_3) | instid1(VALU_DEP_3)
	v_fma_f64 v[123:124], v[123:124], -0.5, v[58:59]
	v_add_f64_e32 v[58:59], v[58:59], v[2:3]
	v_add_f64_e64 v[2:3], v[6:7], -v[2:3]
	v_add_f64_e32 v[4:5], v[56:57], v[4:5]
	v_add_f64_e32 v[56:57], v[58:59], v[6:7]
	s_delay_alu instid0(VALU_DEP_2) | instskip(SKIP_1) | instid1(VALU_DEP_3)
	v_add_f64_e32 v[4:5], v[4:5], v[12:13]
	v_add_f64_e64 v[12:13], v[12:13], -v[10:11]
	v_add_f64_e32 v[6:7], v[56:57], v[14:15]
	s_delay_alu instid0(VALU_DEP_3)
	v_add_f64_e32 v[56:57], v[4:5], v[10:11]
	v_add_f64_e64 v[4:5], v[14:15], -v[8:9]
	v_fma_f64 v[10:11], v[135:136], s[16:17], v[123:124]
	v_fma_f64 v[14:15], v[135:136], s[18:19], v[123:124]
	v_add_f64_e32 v[0:1], v[0:1], v[12:13]
	v_add_f64_e32 v[58:59], v[6:7], v[8:9]
	v_fma_f64 v[6:7], v[131:132], s[18:19], v[121:122]
	v_fma_f64 v[8:9], v[131:132], s[16:17], v[121:122]
	v_add_f64_e32 v[2:3], v[2:3], v[4:5]
	s_delay_alu instid0(VALU_DEP_3) | instskip(NEXT) | instid1(VALU_DEP_3)
	v_fma_f64 v[4:5], v[129:130], s[10:11], v[6:7]
	v_fma_f64 v[6:7], v[129:130], s[14:15], v[8:9]
	;; [unrolled: 1-line block ×4, first 2 shown]
	v_add_f64_e64 v[14:15], v[16:17], -v[143:144]
	v_fma_f64 v[121:122], v[0:1], s[20:21], v[4:5]
	v_fma_f64 v[129:130], v[0:1], s[20:21], v[6:7]
	;; [unrolled: 1-line block ×4, first 2 shown]
	v_add_f64_e64 v[0:1], v[16:17], -v[20:21]
	v_add_f64_e64 v[2:3], v[143:144], -v[125:126]
	;; [unrolled: 1-line block ×3, first 2 shown]
	v_add_f64_e32 v[6:7], v[22:23], v[141:142]
	v_add_f64_e64 v[8:9], v[18:19], -v[145:146]
	v_add_f64_e64 v[10:11], v[22:23], -v[141:142]
	v_add_f64_e32 v[0:1], v[0:1], v[2:3]
	v_add_f64_e64 v[2:3], v[18:19], -v[22:23]
	v_fma_f64 v[6:7], v[6:7], -0.5, v[110:111]
	s_delay_alu instid0(VALU_DEP_2) | instskip(SKIP_1) | instid1(VALU_DEP_3)
	v_add_f64_e32 v[2:3], v[2:3], v[4:5]
	v_add_f64_e32 v[4:5], v[20:21], v[125:126]
	v_fma_f64 v[133:134], v[14:15], s[18:19], v[6:7]
	v_fma_f64 v[6:7], v[14:15], s[16:17], v[6:7]
	s_delay_alu instid0(VALU_DEP_3) | instskip(NEXT) | instid1(VALU_DEP_3)
	v_fma_f64 v[4:5], v[4:5], -0.5, v[108:109]
	v_fma_f64 v[135:136], v[147:148], s[14:15], v[133:134]
	s_delay_alu instid0(VALU_DEP_3) | instskip(NEXT) | instid1(VALU_DEP_3)
	v_fma_f64 v[6:7], v[147:148], s[10:11], v[6:7]
	v_fma_f64 v[12:13], v[8:9], s[16:17], v[4:5]
	;; [unrolled: 1-line block ×3, first 2 shown]
	s_delay_alu instid0(VALU_DEP_3)
	v_fma_f64 v[139:140], v[2:3], s[20:21], v[6:7]
	v_add_f64_e32 v[6:7], v[110:111], v[18:19]
	v_fma_f64 v[135:136], v[2:3], s[20:21], v[135:136]
	v_add_f64_e32 v[2:3], v[18:19], v[145:146]
	v_fma_f64 v[12:13], v[10:11], s[10:11], v[12:13]
	v_fma_f64 v[4:5], v[10:11], s[14:15], v[4:5]
	v_add_f64_e32 v[6:7], v[6:7], v[22:23]
	s_delay_alu instid0(VALU_DEP_4) | instskip(NEXT) | instid1(VALU_DEP_4)
	v_fma_f64 v[2:3], v[2:3], -0.5, v[110:111]
	v_fma_f64 v[133:134], v[0:1], s[20:21], v[12:13]
	s_delay_alu instid0(VALU_DEP_4)
	v_fma_f64 v[137:138], v[0:1], s[20:21], v[4:5]
	v_add_f64_e32 v[4:5], v[108:109], v[16:17]
	v_add_f64_e32 v[0:1], v[16:17], v[143:144]
	;; [unrolled: 1-line block ×3, first 2 shown]
	v_add_f64_e64 v[12:13], v[20:21], -v[16:17]
	v_add_f64_e64 v[16:17], v[22:23], -v[18:19]
	;; [unrolled: 1-line block ×3, first 2 shown]
	v_add_f64_e32 v[4:5], v[4:5], v[20:21]
	v_fma_f64 v[0:1], v[0:1], -0.5, v[108:109]
	v_add_f64_e32 v[110:111], v[6:7], v[145:146]
	v_add_f64_e64 v[20:21], v[167:168], -v[163:164]
	v_add_f64_e32 v[12:13], v[12:13], v[18:19]
	v_add_f64_e32 v[4:5], v[4:5], v[125:126]
	v_fma_f64 v[6:7], v[10:11], s[18:19], v[0:1]
	v_fma_f64 v[0:1], v[10:11], s[16:17], v[0:1]
	;; [unrolled: 1-line block ×4, first 2 shown]
	v_add_f64_e32 v[108:109], v[4:5], v[143:144]
	v_add_f64_e64 v[4:5], v[141:142], -v[145:146]
	v_fma_f64 v[0:1], v[8:9], s[14:15], v[0:1]
	v_fma_f64 v[6:7], v[8:9], s[10:11], v[6:7]
	;; [unrolled: 1-line block ×4, first 2 shown]
	v_add_f64_e64 v[14:15], v[159:160], -v[163:164]
	v_add_f64_e64 v[10:11], v[157:158], -v[169:170]
	v_add_f64_e32 v[4:5], v[16:17], v[4:5]
	v_fma_f64 v[145:146], v[12:13], s[20:21], v[0:1]
	v_add_f64_e64 v[0:1], v[159:160], -v[85:86]
	v_fma_f64 v[141:142], v[12:13], s[20:21], v[6:7]
	v_add_f64_e32 v[6:7], v[157:158], v[169:170]
	v_add_f64_e64 v[16:17], v[85:86], -v[167:168]
	v_fma_f64 v[147:148], v[4:5], s[20:21], v[2:3]
	v_add_f64_e64 v[2:3], v[163:164], -v[167:168]
	v_fma_f64 v[143:144], v[4:5], s[20:21], v[8:9]
	v_add_f64_e64 v[4:5], v[165:166], -v[169:170]
	v_fma_f64 v[6:7], v[6:7], -0.5, v[106:107]
	v_add_f64_e64 v[8:9], v[161:162], -v[165:166]
	v_add_f64_e32 v[0:1], v[0:1], v[2:3]
	v_add_f64_e64 v[2:3], v[161:162], -v[157:158]
	s_delay_alu instid0(VALU_DEP_4) | instskip(SKIP_1) | instid1(VALU_DEP_3)
	v_fma_f64 v[18:19], v[14:15], s[16:17], v[6:7]
	v_fma_f64 v[6:7], v[14:15], s[18:19], v[6:7]
	v_add_f64_e32 v[2:3], v[2:3], v[4:5]
	v_add_f64_e32 v[4:5], v[85:86], v[167:168]
	s_delay_alu instid0(VALU_DEP_4) | instskip(NEXT) | instid1(VALU_DEP_4)
	v_fma_f64 v[18:19], v[16:17], s[14:15], v[18:19]
	v_fma_f64 v[6:7], v[16:17], s[10:11], v[6:7]
	s_delay_alu instid0(VALU_DEP_3) | instskip(NEXT) | instid1(VALU_DEP_3)
	v_fma_f64 v[4:5], v[4:5], -0.5, v[104:105]
	v_fma_f64 v[151:152], v[2:3], s[20:21], v[18:19]
	s_delay_alu instid0(VALU_DEP_3)
	v_fma_f64 v[155:156], v[2:3], s[20:21], v[6:7]
	v_add_f64_e32 v[6:7], v[106:107], v[157:158]
	v_add_f64_e32 v[2:3], v[161:162], v[165:166]
	v_add_f64_e64 v[18:19], v[157:158], -v[161:162]
	v_fma_f64 v[12:13], v[8:9], s[18:19], v[4:5]
	v_fma_f64 v[4:5], v[8:9], s[16:17], v[4:5]
	v_add_f64_e32 v[6:7], v[6:7], v[161:162]
	v_fma_f64 v[2:3], v[2:3], -0.5, v[106:107]
	s_delay_alu instid0(VALU_DEP_4) | instskip(NEXT) | instid1(VALU_DEP_4)
	v_fma_f64 v[12:13], v[10:11], s[10:11], v[12:13]
	v_fma_f64 v[4:5], v[10:11], s[14:15], v[4:5]
	s_delay_alu instid0(VALU_DEP_4) | instskip(NEXT) | instid1(VALU_DEP_3)
	v_add_f64_e32 v[6:7], v[6:7], v[165:166]
	v_fma_f64 v[149:150], v[0:1], s[20:21], v[12:13]
	s_delay_alu instid0(VALU_DEP_3) | instskip(SKIP_4) | instid1(VALU_DEP_4)
	v_fma_f64 v[153:154], v[0:1], s[20:21], v[4:5]
	v_add_f64_e32 v[4:5], v[104:105], v[85:86]
	v_add_f64_e32 v[0:1], v[159:160], v[163:164]
	v_add_f64_e64 v[12:13], v[85:86], -v[159:160]
	v_add_f64_e32 v[106:107], v[6:7], v[169:170]
	v_add_f64_e32 v[4:5], v[4:5], v[159:160]
	s_delay_alu instid0(VALU_DEP_4) | instskip(NEXT) | instid1(VALU_DEP_4)
	v_fma_f64 v[0:1], v[0:1], -0.5, v[104:105]
	v_add_f64_e32 v[12:13], v[12:13], v[20:21]
	s_delay_alu instid0(VALU_DEP_3) | instskip(NEXT) | instid1(VALU_DEP_3)
	v_add_f64_e32 v[4:5], v[4:5], v[163:164]
	v_fma_f64 v[6:7], v[10:11], s[16:17], v[0:1]
	v_fma_f64 v[0:1], v[10:11], s[18:19], v[0:1]
	;; [unrolled: 1-line block ×4, first 2 shown]
	v_add_f64_e32 v[104:105], v[4:5], v[167:168]
	v_add_f64_e64 v[4:5], v[169:170], -v[165:166]
	v_fma_f64 v[0:1], v[8:9], s[14:15], v[0:1]
	v_fma_f64 v[6:7], v[8:9], s[10:11], v[6:7]
	;; [unrolled: 1-line block ×4, first 2 shown]
	v_add_f64_e32 v[4:5], v[18:19], v[4:5]
	v_fma_f64 v[161:162], v[12:13], s[20:21], v[0:1]
	s_wait_alu 0xf1ff
	v_cndmask_b32_e64 v0, 0, 0xff, s0
	v_fma_f64 v[157:158], v[12:13], s[20:21], v[6:7]
	s_delay_alu instid0(VALU_DEP_2) | instskip(NEXT) | instid1(VALU_DEP_1)
	v_add_nc_u32_e32 v0, v84, v0
	v_add_lshl_u32 v0, v204, v0, 4
	ds_store_b128 v0, v[56:59]
	ds_store_b128 v0, v[113:116] offset:816
	ds_store_b128 v0, v[121:124] offset:1632
	;; [unrolled: 1-line block ×3, first 2 shown]
	scratch_store_b32 off, v0, off offset:380 ; 4-byte Folded Spill
	ds_store_b128 v0, v[117:120] offset:3264
	v_and_b32_e32 v0, 0xffff, v24
	v_lshlrev_b32_e32 v24, 6, v112
	s_delay_alu instid0(VALU_DEP_2) | instskip(NEXT) | instid1(VALU_DEP_1)
	v_mul_u32_u24_e32 v0, 0xff, v0
	v_add_nc_u32_e32 v0, v0, v25
	s_delay_alu instid0(VALU_DEP_1)
	v_add_lshl_u32 v0, v204, v0, 4
	ds_store_b128 v0, v[108:111]
	ds_store_b128 v0, v[133:136] offset:816
	ds_store_b128 v0, v[141:144] offset:1632
	;; [unrolled: 1-line block ×3, first 2 shown]
	v_fma_f64 v[163:164], v[4:5], s[20:21], v[2:3]
	v_fma_f64 v[159:160], v[4:5], s[20:21], v[8:9]
	scratch_store_b32 off, v0, off offset:344 ; 4-byte Folded Spill
	ds_store_b128 v0, v[137:140] offset:3264
	v_and_b32_e32 v0, 0xffff, v26
	v_lshlrev_b32_e32 v108, 6, v226
	s_delay_alu instid0(VALU_DEP_2) | instskip(NEXT) | instid1(VALU_DEP_1)
	v_mul_u32_u24_e32 v0, 0xff, v0
	v_add_nc_u32_e32 v0, v0, v27
	s_delay_alu instid0(VALU_DEP_1)
	v_add_lshl_u32 v0, v204, v0, 4
	ds_store_b128 v0, v[104:107]
	ds_store_b128 v0, v[157:160] offset:816
	ds_store_b128 v0, v[149:152] offset:1632
	;; [unrolled: 1-line block ×3, first 2 shown]
	scratch_store_b32 off, v0, off offset:260 ; 4-byte Folded Spill
	ds_store_b128 v0, v[161:164] offset:3264
	global_wb scope:SCOPE_SE
	s_wait_storecnt_dscnt 0x0
	s_barrier_signal -1
	s_barrier_wait -1
	global_inv scope:SCOPE_SE
	s_clause 0x1
	global_load_b128 v[4:7], v108, s[2:3] offset:3808
	global_load_b128 v[8:11], v108, s[2:3] offset:3824
	ds_load_b128 v[104:107], v228 offset:4080
	ds_load_b128 v[172:175], v228 offset:2720
	s_wait_loadcnt_dscnt 0x101
	v_mul_f64_e32 v[0:1], v[106:107], v[6:7]
	v_mul_f64_e32 v[2:3], v[104:105], v[6:7]
	scratch_store_b128 off, v[4:7], off offset:212 ; 16-byte Folded Spill
	v_fma_f64 v[0:1], v[104:105], v[4:5], -v[0:1]
	v_fma_f64 v[2:3], v[106:107], v[4:5], v[2:3]
	ds_load_b128 v[104:107], v228 offset:8160
	ds_load_b128 v[120:123], v228 offset:9520
	s_wait_loadcnt 0x0
	scratch_store_b128 off, v[8:11], off offset:328 ; 16-byte Folded Spill
	s_clause 0x1
	global_load_b128 v[12:15], v108, s[2:3] offset:3840
	global_load_b128 v[16:19], v108, s[2:3] offset:3856
	ds_load_b128 v[113:116], v228 offset:12240
	ds_load_b128 v[136:139], v228 offset:10880
	s_wait_dscnt 0x3
	v_mul_f64_e32 v[4:5], v[106:107], v[10:11]
	v_mul_f64_e32 v[6:7], v[104:105], v[10:11]
	s_delay_alu instid0(VALU_DEP_2) | instskip(NEXT) | instid1(VALU_DEP_2)
	v_fma_f64 v[4:5], v[104:105], v[8:9], -v[4:5]
	v_fma_f64 v[6:7], v[106:107], v[8:9], v[6:7]
	s_wait_loadcnt_dscnt 0x101
	v_mul_f64_e32 v[8:9], v[115:116], v[14:15]
	v_mul_f64_e32 v[10:11], v[113:114], v[14:15]
	scratch_store_b128 off, v[12:15], off offset:420 ; 16-byte Folded Spill
	v_fma_f64 v[8:9], v[113:114], v[12:13], -v[8:9]
	v_fma_f64 v[10:11], v[115:116], v[12:13], v[10:11]
	ds_load_b128 v[113:116], v228 offset:16320
	ds_load_b128 v[129:132], v228 offset:17680
	s_wait_loadcnt 0x0
	scratch_store_b128 off, v[16:19], off offset:436 ; 16-byte Folded Spill
	s_clause 0x1
	global_load_b128 v[20:23], v24, s[2:3] offset:3808
	global_load_b128 v[25:28], v24, s[2:3] offset:3824
	ds_load_b128 v[124:127], v228 offset:5440
	ds_load_b128 v[140:143], v228 offset:6800
	s_wait_dscnt 0x3
	v_mul_f64_e32 v[12:13], v[115:116], v[18:19]
	v_mul_f64_e32 v[14:15], v[113:114], v[18:19]
	v_add_f64_e64 v[186:187], v[4:5], -v[8:9]
	v_add_f64_e64 v[170:171], v[6:7], -v[10:11]
	s_delay_alu instid0(VALU_DEP_4) | instskip(NEXT) | instid1(VALU_DEP_4)
	v_fma_f64 v[12:13], v[113:114], v[16:17], -v[12:13]
	v_fma_f64 v[14:15], v[115:116], v[16:17], v[14:15]
	s_delay_alu instid0(VALU_DEP_2) | instskip(NEXT) | instid1(VALU_DEP_2)
	v_add_f64_e64 v[184:185], v[0:1], -v[12:13]
	v_add_f64_e64 v[168:169], v[2:3], -v[14:15]
	s_wait_loadcnt_dscnt 0x101
	v_mul_f64_e32 v[16:17], v[126:127], v[22:23]
	v_mul_f64_e32 v[18:19], v[124:125], v[22:23]
	scratch_store_b128 off, v[20:23], off offset:468 ; 16-byte Folded Spill
	s_wait_loadcnt 0x0
	scratch_store_b128 off, v[25:28], off offset:452 ; 16-byte Folded Spill
	v_mul_f64_e32 v[22:23], v[120:121], v[27:28]
	v_fma_f64 v[16:17], v[124:125], v[20:21], -v[16:17]
	v_fma_f64 v[18:19], v[126:127], v[20:21], v[18:19]
	v_mul_f64_e32 v[20:21], v[122:123], v[27:28]
	s_delay_alu instid0(VALU_DEP_4) | instskip(NEXT) | instid1(VALU_DEP_2)
	v_fma_f64 v[22:23], v[122:123], v[25:26], v[22:23]
	v_fma_f64 v[20:21], v[120:121], v[25:26], -v[20:21]
	s_clause 0x1
	global_load_b128 v[28:31], v24, s[2:3] offset:3840
	global_load_b128 v[24:27], v24, s[2:3] offset:3856
	ds_load_b128 v[144:147], v228 offset:13600
	ds_load_b128 v[148:151], v228 offset:14960
	s_wait_loadcnt_dscnt 0x101
	v_mul_f64_e32 v[133:134], v[146:147], v[30:31]
	scratch_store_b128 off, v[28:31], off offset:500 ; 16-byte Folded Spill
	s_wait_loadcnt 0x0
	scratch_store_b128 off, v[24:27], off offset:484 ; 16-byte Folded Spill
	v_fma_f64 v[176:177], v[144:145], v[28:29], -v[133:134]
	v_mul_f64_e32 v[133:134], v[144:145], v[30:31]
	s_delay_alu instid0(VALU_DEP_2) | instskip(NEXT) | instid1(VALU_DEP_2)
	v_add_f64_e64 v[188:189], v[20:21], -v[176:177]
	v_fma_f64 v[178:179], v[146:147], v[28:29], v[133:134]
	v_mul_f64_e32 v[133:134], v[131:132], v[26:27]
	s_delay_alu instid0(VALU_DEP_1) | instskip(SKIP_1) | instid1(VALU_DEP_1)
	v_fma_f64 v[180:181], v[129:130], v[24:25], -v[133:134]
	v_mul_f64_e32 v[129:130], v[129:130], v[26:27]
	v_fma_f64 v[182:183], v[131:132], v[24:25], v[129:130]
	v_lshlrev_b32_e32 v24, 6, v128
	s_clause 0x1
	global_load_b128 v[29:32], v24, s[2:3] offset:3808
	global_load_b128 v[25:28], v24, s[2:3] offset:3824
	s_wait_loadcnt 0x1
	v_mul_f64_e32 v[144:145], v[142:143], v[31:32]
	scratch_store_b128 off, v[29:32], off offset:532 ; 16-byte Folded Spill
	s_wait_loadcnt 0x0
	scratch_store_b128 off, v[25:28], off offset:516 ; 16-byte Folded Spill
	v_fma_f64 v[192:193], v[140:141], v[29:30], -v[144:145]
	v_mul_f64_e32 v[140:141], v[140:141], v[31:32]
	s_delay_alu instid0(VALU_DEP_1) | instskip(SKIP_1) | instid1(VALU_DEP_1)
	v_fma_f64 v[194:195], v[142:143], v[29:30], v[140:141]
	v_mul_f64_e32 v[140:141], v[138:139], v[27:28]
	v_fma_f64 v[196:197], v[136:137], v[25:26], -v[140:141]
	v_mul_f64_e32 v[136:137], v[136:137], v[27:28]
	s_delay_alu instid0(VALU_DEP_1)
	v_fma_f64 v[198:199], v[138:139], v[25:26], v[136:137]
	s_clause 0x1
	global_load_b128 v[28:31], v24, s[2:3] offset:3840
	global_load_b128 v[24:27], v24, s[2:3] offset:3856
	s_wait_loadcnt_dscnt 0x100
	v_mul_f64_e32 v[144:145], v[150:151], v[30:31]
	scratch_store_b128 off, v[28:31], off offset:564 ; 16-byte Folded Spill
	s_wait_loadcnt 0x0
	scratch_store_b128 off, v[24:27], off offset:548 ; 16-byte Folded Spill
	v_fma_f64 v[204:205], v[148:149], v[28:29], -v[144:145]
	v_mul_f64_e32 v[144:145], v[148:149], v[30:31]
	s_delay_alu instid0(VALU_DEP_1) | instskip(SKIP_3) | instid1(VALU_DEP_1)
	v_fma_f64 v[206:207], v[150:151], v[28:29], v[144:145]
	ds_load_b128 v[144:147], v228 offset:19040
	s_wait_dscnt 0x0
	v_mul_f64_e32 v[148:149], v[146:147], v[26:27]
	v_fma_f64 v[208:209], v[144:145], v[24:25], -v[148:149]
	v_mul_f64_e32 v[144:145], v[144:145], v[26:27]
	v_add_f64_e32 v[148:149], v[4:5], v[8:9]
	s_delay_alu instid0(VALU_DEP_2) | instskip(SKIP_2) | instid1(VALU_DEP_1)
	v_fma_f64 v[210:211], v[146:147], v[24:25], v[144:145]
	v_add_f64_e64 v[144:145], v[0:1], -v[4:5]
	v_add_f64_e64 v[146:147], v[12:13], -v[8:9]
	v_add_f64_e32 v[152:153], v[144:145], v[146:147]
	v_add_f64_e64 v[144:145], v[2:3], -v[6:7]
	v_add_f64_e64 v[146:147], v[14:15], -v[10:11]
	s_delay_alu instid0(VALU_DEP_1)
	v_add_f64_e32 v[154:155], v[144:145], v[146:147]
	ds_load_b128 v[144:147], v228
	ds_load_b128 v[164:167], v228 offset:1360
	s_wait_dscnt 0x1
	v_fma_f64 v[156:157], v[148:149], -0.5, v[144:145]
	v_add_f64_e32 v[148:149], v[6:7], v[10:11]
	s_delay_alu instid0(VALU_DEP_1) | instskip(NEXT) | instid1(VALU_DEP_3)
	v_fma_f64 v[158:159], v[148:149], -0.5, v[146:147]
	v_fma_f64 v[148:149], v[168:169], s[16:17], v[156:157]
	v_fma_f64 v[156:157], v[168:169], s[18:19], v[156:157]
	s_delay_alu instid0(VALU_DEP_3) | instskip(SKIP_1) | instid1(VALU_DEP_4)
	v_fma_f64 v[150:151], v[184:185], s[18:19], v[158:159]
	v_fma_f64 v[158:159], v[184:185], s[16:17], v[158:159]
	v_fma_f64 v[148:149], v[170:171], s[10:11], v[148:149]
	s_delay_alu instid0(VALU_DEP_4) | instskip(NEXT) | instid1(VALU_DEP_4)
	v_fma_f64 v[156:157], v[170:171], s[14:15], v[156:157]
	v_fma_f64 v[150:151], v[186:187], s[14:15], v[150:151]
	s_delay_alu instid0(VALU_DEP_4) | instskip(NEXT) | instid1(VALU_DEP_4)
	v_fma_f64 v[158:159], v[186:187], s[10:11], v[158:159]
	v_fma_f64 v[148:149], v[152:153], s[20:21], v[148:149]
	s_delay_alu instid0(VALU_DEP_4) | instskip(SKIP_4) | instid1(VALU_DEP_4)
	v_fma_f64 v[160:161], v[152:153], s[20:21], v[156:157]
	v_add_f64_e32 v[152:153], v[0:1], v[12:13]
	v_fma_f64 v[150:151], v[154:155], s[20:21], v[150:151]
	v_fma_f64 v[162:163], v[154:155], s[20:21], v[158:159]
	v_add_f64_e32 v[154:155], v[2:3], v[14:15]
	v_fma_f64 v[152:153], v[152:153], -0.5, v[144:145]
	v_add_f64_e32 v[144:145], v[144:145], v[0:1]
	v_add_f64_e64 v[0:1], v[4:5], -v[0:1]
	s_delay_alu instid0(VALU_DEP_4) | instskip(SKIP_3) | instid1(VALU_DEP_3)
	v_fma_f64 v[154:155], v[154:155], -0.5, v[146:147]
	v_add_f64_e32 v[146:147], v[146:147], v[2:3]
	v_add_f64_e64 v[2:3], v[6:7], -v[2:3]
	v_add_f64_e32 v[4:5], v[144:145], v[4:5]
	v_add_f64_e32 v[144:145], v[146:147], v[6:7]
	s_delay_alu instid0(VALU_DEP_2) | instskip(SKIP_1) | instid1(VALU_DEP_3)
	v_add_f64_e32 v[4:5], v[4:5], v[8:9]
	v_add_f64_e64 v[8:9], v[8:9], -v[12:13]
	v_add_f64_e32 v[6:7], v[144:145], v[10:11]
	s_delay_alu instid0(VALU_DEP_3)
	v_add_f64_e32 v[144:145], v[4:5], v[12:13]
	v_add_f64_e64 v[4:5], v[10:11], -v[14:15]
	v_fma_f64 v[10:11], v[170:171], s[16:17], v[152:153]
	v_fma_f64 v[12:13], v[186:187], s[16:17], v[154:155]
	v_add_f64_e32 v[0:1], v[0:1], v[8:9]
	v_add_f64_e32 v[146:147], v[6:7], v[14:15]
	v_fma_f64 v[6:7], v[170:171], s[18:19], v[152:153]
	v_fma_f64 v[14:15], v[186:187], s[18:19], v[154:155]
	v_add_f64_e32 v[2:3], v[2:3], v[4:5]
	v_fma_f64 v[8:9], v[184:185], s[14:15], v[12:13]
	ds_store_b128 v34, v[144:147]
	v_fma_f64 v[4:5], v[168:169], s[10:11], v[6:7]
	v_fma_f64 v[6:7], v[168:169], s[14:15], v[10:11]
	;; [unrolled: 1-line block ×3, first 2 shown]
	v_add_f64_e64 v[14:15], v[16:17], -v[180:181]
	v_fma_f64 v[154:155], v[2:3], s[20:21], v[8:9]
	v_add_f64_e64 v[8:9], v[18:19], -v[182:183]
	v_fma_f64 v[152:153], v[0:1], s[20:21], v[4:5]
	v_fma_f64 v[156:157], v[0:1], s[20:21], v[6:7]
	;; [unrolled: 1-line block ×3, first 2 shown]
	v_add_f64_e64 v[0:1], v[16:17], -v[20:21]
	v_add_f64_e64 v[2:3], v[180:181], -v[176:177]
	;; [unrolled: 1-line block ×3, first 2 shown]
	v_add_f64_e32 v[6:7], v[22:23], v[178:179]
	v_add_f64_e64 v[10:11], v[22:23], -v[178:179]
	s_delay_alu instid0(VALU_DEP_4) | instskip(SKIP_2) | instid1(VALU_DEP_4)
	v_add_f64_e32 v[0:1], v[0:1], v[2:3]
	v_add_f64_e64 v[2:3], v[18:19], -v[22:23]
	s_wait_dscnt 0x1
	v_fma_f64 v[6:7], v[6:7], -0.5, v[166:167]
	s_delay_alu instid0(VALU_DEP_2) | instskip(SKIP_1) | instid1(VALU_DEP_3)
	v_add_f64_e32 v[2:3], v[2:3], v[4:5]
	v_add_f64_e32 v[4:5], v[20:21], v[176:177]
	v_fma_f64 v[168:169], v[14:15], s[18:19], v[6:7]
	v_fma_f64 v[6:7], v[14:15], s[16:17], v[6:7]
	s_delay_alu instid0(VALU_DEP_3) | instskip(NEXT) | instid1(VALU_DEP_3)
	v_fma_f64 v[4:5], v[4:5], -0.5, v[164:165]
	v_fma_f64 v[170:171], v[188:189], s[14:15], v[168:169]
	s_delay_alu instid0(VALU_DEP_3) | instskip(NEXT) | instid1(VALU_DEP_3)
	v_fma_f64 v[6:7], v[188:189], s[10:11], v[6:7]
	v_fma_f64 v[12:13], v[8:9], s[16:17], v[4:5]
	;; [unrolled: 1-line block ×3, first 2 shown]
	s_delay_alu instid0(VALU_DEP_3)
	v_fma_f64 v[186:187], v[2:3], s[20:21], v[6:7]
	v_add_f64_e32 v[6:7], v[166:167], v[18:19]
	v_fma_f64 v[170:171], v[2:3], s[20:21], v[170:171]
	v_add_f64_e32 v[2:3], v[18:19], v[182:183]
	v_fma_f64 v[12:13], v[10:11], s[10:11], v[12:13]
	v_fma_f64 v[4:5], v[10:11], s[14:15], v[4:5]
	v_add_f64_e32 v[6:7], v[6:7], v[22:23]
	s_delay_alu instid0(VALU_DEP_4) | instskip(NEXT) | instid1(VALU_DEP_4)
	v_fma_f64 v[2:3], v[2:3], -0.5, v[166:167]
	v_fma_f64 v[168:169], v[0:1], s[20:21], v[12:13]
	s_delay_alu instid0(VALU_DEP_4)
	v_fma_f64 v[184:185], v[0:1], s[20:21], v[4:5]
	v_add_f64_e32 v[4:5], v[164:165], v[16:17]
	v_add_f64_e32 v[0:1], v[16:17], v[180:181]
	;; [unrolled: 1-line block ×3, first 2 shown]
	v_add_f64_e64 v[12:13], v[20:21], -v[16:17]
	v_add_f64_e64 v[16:17], v[22:23], -v[18:19]
	;; [unrolled: 1-line block ×3, first 2 shown]
	v_add_f64_e32 v[4:5], v[4:5], v[20:21]
	v_fma_f64 v[0:1], v[0:1], -0.5, v[164:165]
	v_add_f64_e32 v[166:167], v[6:7], v[182:183]
	v_add_f64_e64 v[20:21], v[208:209], -v[204:205]
	v_add_f64_e32 v[12:13], v[12:13], v[18:19]
	v_add_f64_e32 v[4:5], v[4:5], v[176:177]
	v_fma_f64 v[6:7], v[10:11], s[18:19], v[0:1]
	v_fma_f64 v[0:1], v[10:11], s[16:17], v[0:1]
	;; [unrolled: 1-line block ×4, first 2 shown]
	v_add_f64_e32 v[164:165], v[4:5], v[180:181]
	v_add_f64_e64 v[4:5], v[178:179], -v[182:183]
	v_fma_f64 v[0:1], v[8:9], s[14:15], v[0:1]
	v_fma_f64 v[6:7], v[8:9], s[10:11], v[6:7]
	;; [unrolled: 1-line block ×4, first 2 shown]
	v_add_f64_e64 v[14:15], v[196:197], -v[204:205]
	v_add_f64_e64 v[10:11], v[194:195], -v[210:211]
	v_add_f64_e32 v[4:5], v[16:17], v[4:5]
	v_fma_f64 v[200:201], v[12:13], s[20:21], v[0:1]
	v_add_f64_e64 v[0:1], v[196:197], -v[192:193]
	v_fma_f64 v[188:189], v[12:13], s[20:21], v[6:7]
	v_add_f64_e32 v[6:7], v[194:195], v[210:211]
	v_add_f64_e64 v[16:17], v[192:193], -v[208:209]
	v_fma_f64 v[202:203], v[4:5], s[20:21], v[2:3]
	v_add_f64_e64 v[2:3], v[204:205], -v[208:209]
	v_fma_f64 v[190:191], v[4:5], s[20:21], v[8:9]
	v_add_f64_e64 v[4:5], v[206:207], -v[210:211]
	v_fma_f64 v[6:7], v[6:7], -0.5, v[174:175]
	v_add_f64_e64 v[8:9], v[198:199], -v[206:207]
	v_add_f64_e32 v[0:1], v[0:1], v[2:3]
	v_add_f64_e64 v[2:3], v[198:199], -v[194:195]
	s_delay_alu instid0(VALU_DEP_4) | instskip(SKIP_1) | instid1(VALU_DEP_3)
	v_fma_f64 v[18:19], v[14:15], s[16:17], v[6:7]
	v_fma_f64 v[6:7], v[14:15], s[18:19], v[6:7]
	v_add_f64_e32 v[2:3], v[2:3], v[4:5]
	v_add_f64_e32 v[4:5], v[192:193], v[208:209]
	s_delay_alu instid0(VALU_DEP_4) | instskip(NEXT) | instid1(VALU_DEP_4)
	v_fma_f64 v[18:19], v[16:17], s[14:15], v[18:19]
	v_fma_f64 v[6:7], v[16:17], s[10:11], v[6:7]
	s_delay_alu instid0(VALU_DEP_3) | instskip(NEXT) | instid1(VALU_DEP_3)
	v_fma_f64 v[4:5], v[4:5], -0.5, v[172:173]
	v_fma_f64 v[182:183], v[2:3], s[20:21], v[18:19]
	s_delay_alu instid0(VALU_DEP_3)
	v_fma_f64 v[178:179], v[2:3], s[20:21], v[6:7]
	v_add_f64_e32 v[6:7], v[174:175], v[194:195]
	v_add_f64_e32 v[2:3], v[198:199], v[206:207]
	v_add_f64_e64 v[18:19], v[194:195], -v[198:199]
	v_fma_f64 v[12:13], v[8:9], s[18:19], v[4:5]
	v_fma_f64 v[4:5], v[8:9], s[16:17], v[4:5]
	v_add_f64_e32 v[6:7], v[6:7], v[198:199]
	v_fma_f64 v[2:3], v[2:3], -0.5, v[174:175]
	s_delay_alu instid0(VALU_DEP_4) | instskip(NEXT) | instid1(VALU_DEP_4)
	v_fma_f64 v[12:13], v[10:11], s[10:11], v[12:13]
	v_fma_f64 v[4:5], v[10:11], s[14:15], v[4:5]
	s_delay_alu instid0(VALU_DEP_4) | instskip(NEXT) | instid1(VALU_DEP_3)
	v_add_f64_e32 v[6:7], v[6:7], v[206:207]
	v_fma_f64 v[180:181], v[0:1], s[20:21], v[12:13]
	s_delay_alu instid0(VALU_DEP_3) | instskip(SKIP_4) | instid1(VALU_DEP_4)
	v_fma_f64 v[176:177], v[0:1], s[20:21], v[4:5]
	v_add_f64_e32 v[4:5], v[172:173], v[192:193]
	v_add_f64_e32 v[0:1], v[196:197], v[204:205]
	v_add_f64_e64 v[12:13], v[192:193], -v[196:197]
	v_add_f64_e32 v[198:199], v[6:7], v[210:211]
	v_add_f64_e32 v[4:5], v[4:5], v[196:197]
	s_delay_alu instid0(VALU_DEP_4) | instskip(NEXT) | instid1(VALU_DEP_4)
	v_fma_f64 v[0:1], v[0:1], -0.5, v[172:173]
	v_add_f64_e32 v[12:13], v[12:13], v[20:21]
	s_delay_alu instid0(VALU_DEP_3) | instskip(NEXT) | instid1(VALU_DEP_3)
	v_add_f64_e32 v[4:5], v[4:5], v[204:205]
	v_fma_f64 v[6:7], v[10:11], s[16:17], v[0:1]
	v_fma_f64 v[0:1], v[10:11], s[18:19], v[0:1]
	v_fma_f64 v[10:11], v[16:17], s[18:19], v[2:3]
	v_fma_f64 v[2:3], v[16:17], s[16:17], v[2:3]
	v_add_f64_e32 v[196:197], v[4:5], v[208:209]
	v_add_f64_e64 v[4:5], v[210:211], -v[206:207]
	v_fma_f64 v[6:7], v[8:9], s[10:11], v[6:7]
	v_fma_f64 v[0:1], v[8:9], s[14:15], v[0:1]
	;; [unrolled: 1-line block ×4, first 2 shown]
	v_add_f64_e32 v[4:5], v[18:19], v[4:5]
	v_fma_f64 v[192:193], v[12:13], s[20:21], v[6:7]
	v_fma_f64 v[172:173], v[12:13], s[20:21], v[0:1]
	s_delay_alu instid0(VALU_DEP_3)
	v_fma_f64 v[194:195], v[4:5], s[20:21], v[8:9]
	v_fma_f64 v[174:175], v[4:5], s[20:21], v[2:3]
	ds_store_b128 v234, v[164:167] offset:1360
	ds_store_b128 v234, v[196:199] offset:2720
	;; [unrolled: 1-line block ×14, first 2 shown]
	global_wb scope:SCOPE_SE
	s_wait_storecnt_dscnt 0x0
	s_barrier_signal -1
	s_barrier_wait -1
	global_inv scope:SCOPE_SE
	s_and_saveexec_b32 s2, vcc_lo
	s_cbranch_execz .LBB0_9
; %bb.8:
	global_load_b128 v[204:207], v255, s[8:9] offset:20400
	s_add_nc_u64 s[0:1], s[8:9], 0x4fb0
	v_dual_mov_b32 v26, v213 :: v_dual_mov_b32 v27, v214
	global_load_b128 v[208:211], v255, s[0:1] offset:1200
	v_dual_mov_b32 v30, v217 :: v_dual_mov_b32 v31, v218
	v_dual_mov_b32 v28, v215 :: v_dual_mov_b32 v29, v216
	global_load_b128 v[212:215], v255, s[0:1] offset:2400
	v_dual_mov_b32 v32, v219 :: v_dual_mov_b32 v33, v220
	global_load_b128 v[216:219], v255, s[0:1] offset:3600
	v_dual_mov_b32 v24, v221 :: v_dual_mov_b32 v25, v226
	s_clause 0x3
	global_load_b128 v[220:223], v255, s[0:1] offset:4800
	global_load_b128 v[239:242], v255, s[0:1] offset:6000
	;; [unrolled: 1-line block ×4, first 2 shown]
	ds_load_b128 v[251:254], v34
	s_clause 0x1
	global_load_b128 v[229:232], v255, s[0:1] offset:9600
	global_load_b128 v[0:3], v255, s[0:1] offset:10800
	s_wait_loadcnt_dscnt 0x900
	v_mul_f64_e32 v[4:5], v[253:254], v[206:207]
	v_mul_f64_e32 v[6:7], v[251:252], v[206:207]
	s_delay_alu instid0(VALU_DEP_2) | instskip(NEXT) | instid1(VALU_DEP_2)
	v_fma_f64 v[251:252], v[251:252], v[204:205], -v[4:5]
	v_fma_f64 v[253:254], v[253:254], v[204:205], v[6:7]
	s_clause 0x1
	global_load_b128 v[204:207], v255, s[0:1] offset:12000
	global_load_b128 v[4:7], v255, s[0:1] offset:13200
	ds_store_b128 v34, v[251:254]
	ds_load_b128 v[251:254], v234 offset:1200
	ds_load_b128 v[224:227], v234 offset:2400
	s_wait_loadcnt_dscnt 0xa01
	v_mul_f64_e32 v[8:9], v[253:254], v[210:211]
	v_mul_f64_e32 v[10:11], v[251:252], v[210:211]
	s_wait_loadcnt_dscnt 0x900
	v_mul_f64_e32 v[12:13], v[226:227], v[214:215]
	v_mul_f64_e32 v[14:15], v[224:225], v[214:215]
	s_delay_alu instid0(VALU_DEP_4) | instskip(NEXT) | instid1(VALU_DEP_4)
	v_fma_f64 v[251:252], v[251:252], v[208:209], -v[8:9]
	v_fma_f64 v[253:254], v[253:254], v[208:209], v[10:11]
	ds_load_b128 v[208:211], v234 offset:3600
	ds_load_b128 v[235:238], v234 offset:4800
	v_fma_f64 v[224:225], v[224:225], v[212:213], -v[12:13]
	v_fma_f64 v[226:227], v[226:227], v[212:213], v[14:15]
	s_wait_loadcnt_dscnt 0x801
	v_mul_f64_e32 v[8:9], v[210:211], v[218:219]
	v_mul_f64_e32 v[10:11], v[208:209], v[218:219]
	s_wait_loadcnt_dscnt 0x700
	v_mul_f64_e32 v[12:13], v[237:238], v[222:223]
	v_mul_f64_e32 v[14:15], v[235:236], v[222:223]
	s_delay_alu instid0(VALU_DEP_4) | instskip(NEXT) | instid1(VALU_DEP_4)
	v_fma_f64 v[208:209], v[208:209], v[216:217], -v[8:9]
	v_fma_f64 v[210:211], v[210:211], v[216:217], v[10:11]
	ds_load_b128 v[212:215], v234 offset:6000
	ds_load_b128 v[216:219], v234 offset:7200
	v_fma_f64 v[235:236], v[235:236], v[220:221], -v[12:13]
	v_fma_f64 v[237:238], v[237:238], v[220:221], v[14:15]
	;; [unrolled: 13-line block ×4, first 2 shown]
	s_wait_loadcnt_dscnt 0x201
	v_mul_f64_e32 v[8:9], v[245:246], v[2:3]
	v_mul_f64_e32 v[2:3], v[243:244], v[2:3]
	s_wait_loadcnt_dscnt 0x100
	v_mul_f64_e32 v[10:11], v[249:250], v[206:207]
	v_mul_f64_e32 v[12:13], v[247:248], v[206:207]
	s_delay_alu instid0(VALU_DEP_4) | instskip(NEXT) | instid1(VALU_DEP_4)
	v_fma_f64 v[229:230], v[243:244], v[0:1], -v[8:9]
	v_fma_f64 v[231:232], v[245:246], v[0:1], v[2:3]
	ds_load_b128 v[243:246], v234 offset:13200
	global_load_b128 v[0:3], v255, s[0:1] offset:14400
	v_fma_f64 v[247:248], v[247:248], v[204:205], -v[10:11]
	v_fma_f64 v[249:250], v[249:250], v[204:205], v[12:13]
	ds_load_b128 v[204:207], v234 offset:14400
	s_wait_loadcnt_dscnt 0x101
	v_mul_f64_e32 v[8:9], v[245:246], v[6:7]
	v_mul_f64_e32 v[6:7], v[243:244], v[6:7]
	s_delay_alu instid0(VALU_DEP_2) | instskip(NEXT) | instid1(VALU_DEP_2)
	v_fma_f64 v[243:244], v[243:244], v[4:5], -v[8:9]
	v_fma_f64 v[245:246], v[245:246], v[4:5], v[6:7]
	global_load_b128 v[4:7], v255, s[0:1] offset:15600
	s_wait_loadcnt_dscnt 0x100
	v_mul_f64_e32 v[8:9], v[206:207], v[2:3]
	v_mul_f64_e32 v[2:3], v[204:205], v[2:3]
	s_delay_alu instid0(VALU_DEP_2) | instskip(NEXT) | instid1(VALU_DEP_2)
	v_fma_f64 v[204:205], v[204:205], v[0:1], -v[8:9]
	v_fma_f64 v[206:207], v[206:207], v[0:1], v[2:3]
	ds_load_b128 v[0:3], v234 offset:15600
	ds_load_b128 v[8:11], v234 offset:16800
	s_wait_loadcnt_dscnt 0x1
	v_mul_f64_e32 v[12:13], v[2:3], v[6:7]
	v_mul_f64_e32 v[6:7], v[0:1], v[6:7]
	s_delay_alu instid0(VALU_DEP_2) | instskip(NEXT) | instid1(VALU_DEP_2)
	v_fma_f64 v[0:1], v[0:1], v[4:5], -v[12:13]
	v_fma_f64 v[2:3], v[2:3], v[4:5], v[6:7]
	s_clause 0x1
	global_load_b128 v[4:7], v255, s[0:1] offset:16800
	global_load_b128 v[12:15], v255, s[0:1] offset:18000
	s_wait_loadcnt_dscnt 0x100
	v_mul_f64_e32 v[16:17], v[10:11], v[6:7]
	v_mul_f64_e32 v[18:19], v[8:9], v[6:7]
	s_delay_alu instid0(VALU_DEP_2) | instskip(NEXT) | instid1(VALU_DEP_2)
	v_fma_f64 v[6:7], v[8:9], v[4:5], -v[16:17]
	v_fma_f64 v[8:9], v[10:11], v[4:5], v[18:19]
	ds_load_b128 v[16:19], v234 offset:18000
	ds_load_b128 v[20:23], v234 offset:19200
	s_wait_loadcnt_dscnt 0x1
	v_mul_f64_e32 v[4:5], v[18:19], v[14:15]
	v_mul_f64_e32 v[14:15], v[16:17], v[14:15]
	s_delay_alu instid0(VALU_DEP_2) | instskip(NEXT) | instid1(VALU_DEP_2)
	v_fma_f64 v[10:11], v[16:17], v[12:13], -v[4:5]
	v_fma_f64 v[12:13], v[18:19], v[12:13], v[14:15]
	global_load_b128 v[14:17], v255, s[0:1] offset:19200
	ds_store_b128 v234, v[251:254] offset:1200
	ds_store_b128 v234, v[224:227] offset:2400
	;; [unrolled: 1-line block ×6, first 2 shown]
	v_dual_mov_b32 v216, v29 :: v_dual_mov_b32 v213, v26
	ds_store_b128 v234, v[220:223] offset:8400
	v_dual_mov_b32 v220, v33 :: v_dual_mov_b32 v217, v30
	v_dual_mov_b32 v226, v25 :: v_dual_mov_b32 v215, v28
	;; [unrolled: 1-line block ×4, first 2 shown]
	s_wait_loadcnt_dscnt 0x7
	v_mul_f64_e32 v[4:5], v[22:23], v[16:17]
	v_mul_f64_e32 v[18:19], v[20:21], v[16:17]
	s_delay_alu instid0(VALU_DEP_2) | instskip(NEXT) | instid1(VALU_DEP_2)
	v_fma_f64 v[16:17], v[20:21], v[14:15], -v[4:5]
	v_fma_f64 v[18:19], v[22:23], v[14:15], v[18:19]
	ds_store_b128 v234, v[239:242] offset:9600
	ds_store_b128 v234, v[229:232] offset:10800
	ds_store_b128 v234, v[247:250] offset:12000
	ds_store_b128 v234, v[243:246] offset:13200
	ds_store_b128 v234, v[204:207] offset:14400
	ds_store_b128 v234, v[0:3] offset:15600
	ds_store_b128 v234, v[6:9] offset:16800
	ds_store_b128 v234, v[10:13] offset:18000
	ds_store_b128 v234, v[16:19] offset:19200
.LBB0_9:
	s_wait_alu 0xfffe
	s_or_b32 exec_lo, exec_lo, s2
	global_wb scope:SCOPE_SE
	s_wait_dscnt 0x0
	s_barrier_signal -1
	s_barrier_wait -1
	global_inv scope:SCOPE_SE
	s_and_saveexec_b32 s0, vcc_lo
	s_cbranch_execz .LBB0_11
; %bb.10:
	ds_load_b128 v[144:147], v34
	ds_load_b128 v[148:151], v34 offset:1200
	ds_load_b128 v[152:155], v34 offset:2400
	;; [unrolled: 1-line block ×16, first 2 shown]
.LBB0_11:
	s_wait_alu 0xfffe
	s_or_b32 exec_lo, exec_lo, s0
	v_add_nc_u32_e32 v205, 0x550, v234
	v_add_nc_u32_e32 v204, 0xaa0, v234
	scratch_store_b32 off, v34, off offset:416 ; 4-byte Folded Spill
	global_wb scope:SCOPE_SE
	s_wait_storecnt_dscnt 0x0
	s_barrier_signal -1
	s_barrier_wait -1
	global_inv scope:SCOPE_SE
	s_and_saveexec_b32 s33, vcc_lo
	s_cbranch_execz .LBB0_13
; %bb.12:
	v_add_f64_e32 v[0:1], v[146:147], v[150:151]
	v_add_f64_e32 v[2:3], v[144:145], v[148:149]
	v_add_f64_e64 v[6:7], v[148:149], -v[213:214]
	s_mov_b32 s24, 0x6c9a05f6
	s_mov_b32 s25, 0xbfe9895b
	v_add_f64_e32 v[10:11], v[150:151], v[215:216]
	s_mov_b32 s46, 0x923c349f
	s_mov_b32 s10, 0x6ed5f1bb
	;; [unrolled: 1-line block ×4, first 2 shown]
	v_add_f64_e64 v[206:207], v[200:201], -v[184:185]
	v_add_f64_e32 v[204:205], v[202:203], v[186:187]
	v_add_f64_e64 v[208:209], v[188:189], -v[196:197]
	s_mov_b32 s44, 0x7c9e640b
	s_mov_b32 s14, 0xc61f0d01
	;; [unrolled: 1-line block ×4, first 2 shown]
	s_wait_alu 0xfffe
	s_mov_b32 s36, s44
	s_mov_b32 s15, 0xbfd183b1
	v_add_f64_e64 v[8:9], v[150:151], -v[215:216]
	v_add_f64_e32 v[12:13], v[148:149], v[213:214]
	s_mov_b32 s18, 0x2b2883cd
	s_mov_b32 s19, 0x3fdc86fa
	v_add_f64_e64 v[210:211], v[152:153], -v[217:218]
	s_mov_b32 s34, 0x2a9d6da3
	s_mov_b32 s35, 0x3fe58eea
	;; [unrolled: 1-line block ×3, first 2 shown]
	s_wait_alu 0xfffe
	s_mov_b32 s48, s34
	s_mov_b32 s20, 0x75d4884
	s_mov_b32 s21, 0x3fe7a5f6
	s_mov_b32 s26, 0xeb564b22
	s_mov_b32 s30, 0xacd6c6b4
	s_mov_b32 s38, 0x4363dd80
	s_mov_b32 s40, 0x5d8e7cdc
	s_mov_b32 s27, 0x3fefdd0d
	s_mov_b32 s31, 0xbfc7851a
	s_mov_b32 s39, 0xbfe0d888
	s_mov_b32 s41, 0x3fd71e95
	v_add_f64_e32 v[0:1], v[0:1], v[154:155]
	v_add_f64_e32 v[2:3], v[2:3], v[152:153]
	v_mul_f64_e32 v[16:17], s[24:25], v[6:7]
	v_mul_f64_e32 v[18:19], s[46:47], v[6:7]
	;; [unrolled: 1-line block ×3, first 2 shown]
	v_add_f64_e32 v[152:153], v[152:153], v[217:218]
	s_wait_alu 0xfffe
	v_mul_f64_e32 v[148:149], s[48:49], v[6:7]
	s_mov_b32 s29, 0xbfd71e95
	s_mov_b32 s43, 0xbfefdd0d
	;; [unrolled: 1-line block ×4, first 2 shown]
	v_mul_f64_e32 v[14:15], s[38:39], v[6:7]
	s_wait_alu 0xfffe
	v_mul_f64_e32 v[20:21], s[42:43], v[6:7]
	s_mov_b32 s22, 0x370991
	s_mov_b32 s23, 0x3fedd6d0
	;; [unrolled: 1-line block ×6, first 2 shown]
	v_mul_f64_e32 v[235:236], s[36:37], v[8:9]
	v_mul_f64_e32 v[237:238], s[48:49], v[8:9]
	s_mov_b32 s3, 0xbfeb34fa
	s_mov_b32 s1, 0xbfef7484
	v_mul_f64_e32 v[224:225], s[38:39], v[8:9]
	v_mul_f64_e32 v[229:230], s[46:47], v[8:9]
	;; [unrolled: 1-line block ×4, first 2 shown]
	s_mov_b32 s51, 0x3fe9895b
	s_mov_b32 s50, s24
	;; [unrolled: 1-line block ×4, first 2 shown]
	v_mul_f64_e32 v[34:35], s[48:49], v[210:211]
	v_mul_f64_e32 v[48:49], s[38:39], v[208:209]
	;; [unrolled: 1-line block ×7, first 2 shown]
	v_add_f64_e32 v[0:1], v[0:1], v[158:159]
	v_add_f64_e32 v[2:3], v[2:3], v[156:157]
	v_mul_f64_e32 v[108:109], s[42:43], v[208:209]
	v_mul_f64_e32 v[112:113], s[38:39], v[206:207]
	s_wait_alu 0xfffe
	v_mul_f64_e32 v[132:133], s[50:51], v[208:209]
	v_mul_f64_e32 v[136:137], s[34:35], v[206:207]
	scratch_store_b64 off, v[221:222], off offset:580 ; 8-byte Folded Spill
	v_fma_f64 v[249:250], v[12:13], s[18:19], v[235:236]
	v_fma_f64 v[235:236], v[12:13], s[18:19], -v[235:236]
	v_fma_f64 v[251:252], v[12:13], s[20:21], v[237:238]
	v_fma_f64 v[237:238], v[12:13], s[20:21], -v[237:238]
	v_fma_f64 v[241:242], v[12:13], s[2:3], -v[224:225]
	v_fma_f64 v[224:225], v[12:13], s[2:3], v[224:225]
	v_fma_f64 v[245:246], v[12:13], s[14:15], -v[229:230]
	v_fma_f64 v[229:230], v[12:13], s[14:15], v[229:230]
	;; [unrolled: 2-line block ×3, first 2 shown]
	v_add_f64_e32 v[0:1], v[0:1], v[162:163]
	v_add_f64_e32 v[2:3], v[2:3], v[160:161]
	v_fma_f64 v[114:115], v[204:205], s[2:3], -v[112:113]
	v_fma_f64 v[138:139], v[204:205], s[20:21], -v[136:137]
	v_add_f64_e32 v[241:242], v[144:145], v[241:242]
	v_add_f64_e32 v[224:225], v[144:145], v[224:225]
	;; [unrolled: 1-line block ×7, first 2 shown]
	s_delay_alu instid0(VALU_DEP_2) | instskip(NEXT) | instid1(VALU_DEP_2)
	v_add_f64_e32 v[0:1], v[0:1], v[170:171]
	v_add_f64_e32 v[2:3], v[2:3], v[168:169]
	s_delay_alu instid0(VALU_DEP_2) | instskip(NEXT) | instid1(VALU_DEP_2)
	v_add_f64_e32 v[0:1], v[0:1], v[190:191]
	v_add_f64_e32 v[2:3], v[2:3], v[188:189]
	;; [unrolled: 3-line block ×3, first 2 shown]
	v_add_f64_e32 v[200:201], v[200:201], v[184:185]
	v_add_f64_e64 v[202:203], v[202:203], -v[186:187]
	s_delay_alu instid0(VALU_DEP_4) | instskip(NEXT) | instid1(VALU_DEP_4)
	v_add_f64_e32 v[0:1], v[0:1], v[186:187]
	v_add_f64_e32 v[2:3], v[2:3], v[184:185]
	;; [unrolled: 1-line block ×4, first 2 shown]
	v_add_f64_e64 v[190:191], v[190:191], -v[198:199]
	v_add_f64_e32 v[188:189], v[170:171], v[194:195]
	v_mul_f64_e32 v[30:31], s[26:27], v[202:203]
	v_mul_f64_e32 v[32:33], s[44:45], v[202:203]
	;; [unrolled: 1-line block ×4, first 2 shown]
	v_add_f64_e32 v[0:1], v[0:1], v[198:199]
	v_add_f64_e32 v[2:3], v[2:3], v[196:197]
	v_add_f64_e64 v[198:199], v[170:171], -v[194:195]
	v_add_f64_e32 v[170:171], v[166:167], v[182:183]
	v_add_f64_e64 v[196:197], v[168:169], -v[192:193]
	v_add_f64_e32 v[168:169], v[168:169], v[192:193]
	v_mul_f64_e32 v[50:51], s[38:39], v[190:191]
	v_fma_f64 v[78:79], v[186:187], s[18:19], -v[76:77]
	v_fma_f64 v[110:111], v[186:187], s[16:17], -v[108:109]
	;; [unrolled: 1-line block ×3, first 2 shown]
	v_add_f64_e32 v[0:1], v[0:1], v[194:195]
	v_add_f64_e32 v[2:3], v[2:3], v[192:193]
	v_add_f64_e64 v[194:195], v[166:167], -v[182:183]
	v_add_f64_e32 v[166:167], v[162:163], v[178:179]
	v_add_f64_e64 v[192:193], v[164:165], -v[180:181]
	v_add_f64_e32 v[164:165], v[164:165], v[180:181]
	v_mul_f64_e32 v[44:45], s[24:25], v[196:197]
	v_mul_f64_e32 v[46:47], s[24:25], v[198:199]
	;; [unrolled: 1-line block ×5, first 2 shown]
	v_add_f64_e32 v[0:1], v[0:1], v[182:183]
	v_add_f64_e32 v[2:3], v[2:3], v[180:181]
	v_add_f64_e64 v[182:183], v[162:163], -v[178:179]
	v_add_f64_e32 v[162:163], v[158:159], v[174:175]
	v_add_f64_e64 v[158:159], v[158:159], -v[174:175]
	v_add_f64_e64 v[180:181], v[160:161], -v[176:177]
	v_add_f64_e32 v[160:161], v[160:161], v[176:177]
	v_mul_f64_e32 v[24:25], s[46:47], v[192:193]
	v_mul_f64_e32 v[26:27], s[46:47], v[194:195]
	v_fma_f64 v[74:75], v[188:189], s[14:15], -v[72:73]
	v_mul_f64_e32 v[100:101], s[34:35], v[192:193]
	v_fma_f64 v[106:107], v[188:189], s[22:23], -v[104:105]
	;; [unrolled: 2-line block ×3, first 2 shown]
	v_add_f64_e32 v[0:1], v[0:1], v[178:179]
	v_add_f64_e32 v[2:3], v[2:3], v[176:177]
	v_add_f64_e64 v[178:179], v[154:155], -v[219:220]
	v_add_f64_e32 v[154:155], v[154:155], v[219:220]
	v_add_f64_e64 v[176:177], v[156:157], -v[172:173]
	v_add_f64_e32 v[156:157], v[156:157], v[172:173]
	v_mul_f64_e32 v[38:39], s[36:37], v[158:159]
	v_mul_f64_e32 v[40:41], s[42:43], v[180:181]
	;; [unrolled: 1-line block ×5, first 2 shown]
	v_fma_f64 v[102:103], v[170:171], s[20:21], -v[100:101]
	v_mul_f64_e32 v[120:121], s[40:41], v[180:181]
	v_fma_f64 v[126:127], v[170:171], s[18:19], -v[124:125]
	v_mul_f64_e32 v[140:141], s[36:37], v[182:183]
	v_add_f64_e32 v[0:1], v[0:1], v[174:175]
	v_add_f64_e32 v[2:3], v[2:3], v[172:173]
	v_fma_f64 v[174:175], v[10:11], s[10:11], v[16:17]
	v_fma_f64 v[16:17], v[10:11], s[10:11], -v[16:17]
	v_fma_f64 v[172:173], v[10:11], s[2:3], v[14:15]
	v_fma_f64 v[14:15], v[10:11], s[2:3], -v[14:15]
	v_mul_f64_e32 v[36:37], s[36:37], v[176:177]
	v_mul_f64_e32 v[60:61], s[24:25], v[176:177]
	;; [unrolled: 1-line block ×3, first 2 shown]
	v_fma_f64 v[66:67], v[166:167], s[0:1], -v[64:65]
	v_fma_f64 v[86:87], v[154:155], s[10:11], -v[84:85]
	v_mul_f64_e32 v[88:89], s[24:25], v[178:179]
	v_fma_f64 v[98:99], v[166:167], s[14:15], -v[96:97]
	v_mul_f64_e32 v[116:117], s[52:53], v[176:177]
	v_fma_f64 v[122:123], v[166:167], s[22:23], -v[120:121]
	v_fma_f64 v[142:143], v[160:161], s[18:19], v[140:141]
	v_add_f64_e32 v[0:1], v[0:1], v[219:220]
	v_add_f64_e32 v[4:5], v[2:3], v[217:218]
	v_fma_f64 v[218:219], v[10:11], s[18:19], -v[22:23]
	v_fma_f64 v[22:23], v[10:11], s[18:19], v[22:23]
	v_fma_f64 v[220:221], v[10:11], s[20:21], -v[148:149]
	v_fma_f64 v[148:149], v[10:11], s[20:21], v[148:149]
	v_add_f64_e32 v[14:15], v[146:147], v[14:15]
	v_fma_f64 v[62:63], v[162:163], s[10:11], -v[60:61]
	v_fma_f64 v[90:91], v[152:153], s[10:11], v[88:89]
	v_fma_f64 v[118:119], v[162:163], s[14:15], -v[116:117]
	v_add_f64_e32 v[2:3], v[0:1], v[215:216]
	v_add_f64_e32 v[0:1], v[4:5], v[213:214]
	v_fma_f64 v[212:213], v[10:11], s[14:15], v[18:19]
	v_mul_f64_e32 v[4:5], s[30:31], v[6:7]
	v_mul_f64_e32 v[6:7], s[28:29], v[6:7]
	v_fma_f64 v[18:19], v[10:11], s[14:15], -v[18:19]
	v_fma_f64 v[214:215], v[10:11], s[16:17], v[20:21]
	v_fma_f64 v[20:21], v[10:11], s[16:17], -v[20:21]
	v_add_f64_e32 v[216:217], v[146:147], v[172:173]
	v_add_f64_e32 v[172:173], v[146:147], v[174:175]
	;; [unrolled: 1-line block ×4, first 2 shown]
	scratch_store_b128 off, v[0:3], off offset:588 ; 16-byte Folded Spill
	v_add_f64_e32 v[0:1], v[146:147], v[16:17]
	v_fma_f64 v[150:151], v[10:11], s[0:1], v[4:5]
	v_fma_f64 v[222:223], v[10:11], s[22:23], -v[6:7]
	v_fma_f64 v[6:7], v[10:11], s[22:23], v[6:7]
	v_fma_f64 v[4:5], v[10:11], s[0:1], -v[4:5]
	v_mul_f64_e32 v[10:11], s[30:31], v[8:9]
	v_add_f64_e32 v[2:3], v[146:147], v[20:21]
	v_add_f64_e32 v[214:215], v[146:147], v[214:215]
	;; [unrolled: 1-line block ×5, first 2 shown]
	scratch_store_b64 off, v[0:1], off offset:664 ; 8-byte Folded Spill
	v_add_f64_e32 v[0:1], v[146:147], v[212:213]
	v_add_f64_e32 v[212:213], v[146:147], v[18:19]
	;; [unrolled: 1-line block ×4, first 2 shown]
	v_fma_f64 v[239:240], v[12:13], s[0:1], -v[10:11]
	v_fma_f64 v[10:11], v[12:13], s[0:1], v[10:11]
	scratch_store_b64 off, v[0:1], off offset:656 ; 8-byte Folded Spill
	v_add_f64_e32 v[0:1], v[146:147], v[22:23]
	v_mul_f64_e32 v[22:23], s[38:39], v[176:177]
	v_add_f64_e32 v[90:91], v[90:91], v[222:223]
	v_add_f64_e32 v[10:11], v[144:145], v[10:11]
	scratch_store_b64 off, v[0:1], off offset:648 ; 8-byte Folded Spill
	v_add_f64_e32 v[0:1], v[144:145], v[235:236]
	scratch_store_b64 off, v[0:1], off offset:640 ; 8-byte Folded Spill
	;; [unrolled: 2-line block ×4, first 2 shown]
	v_add_f64_e32 v[0:1], v[146:147], v[6:7]
	scratch_store_b32 off, v233, off offset:604 ; 4-byte Folded Spill
	v_mov_b32_e32 v233, v226
	v_mul_f64_e32 v[226:227], s[24:25], v[8:9]
	v_mul_f64_e32 v[8:9], s[28:29], v[8:9]
	scratch_store_b64 off, v[0:1], off offset:616 ; 8-byte Folded Spill
	v_fma_f64 v[243:244], v[12:13], s[10:11], -v[226:227]
	v_fma_f64 v[253:254], v[12:13], s[22:23], v[8:9]
	v_fma_f64 v[8:9], v[12:13], s[22:23], -v[8:9]
	v_fma_f64 v[226:227], v[12:13], s[10:11], v[226:227]
	v_add_f64_e32 v[12:13], v[146:147], v[150:151]
	v_add_f64_e32 v[150:151], v[144:145], v[239:240]
	;; [unrolled: 1-line block ×6, first 2 shown]
	v_mul_f64_e32 v[8:9], s[40:41], v[210:211]
	v_add_f64_e32 v[226:227], v[144:145], v[226:227]
	v_fma_f64 v[144:145], v[162:163], s[2:3], v[22:23]
	scratch_store_b64 off, v[0:1], off offset:608 ; 8-byte Folded Spill
	v_fma_f64 v[4:5], v[154:155], s[22:23], v[8:9]
	v_fma_f64 v[8:9], v[154:155], s[22:23], -v[8:9]
	v_mul_f64_e32 v[0:1], s[48:49], v[178:179]
	s_delay_alu instid0(VALU_DEP_3) | instskip(SKIP_1) | instid1(VALU_DEP_4)
	v_add_f64_e32 v[4:5], v[4:5], v[12:13]
	v_mul_f64_e32 v[12:13], s[40:41], v[178:179]
	v_add_f64_e32 v[8:9], v[8:9], v[239:240]
	v_mul_f64_e32 v[239:240], s[30:31], v[196:197]
	s_delay_alu instid0(VALU_DEP_4) | instskip(NEXT) | instid1(VALU_DEP_4)
	v_add_f64_e32 v[4:5], v[144:145], v[4:5]
	v_fma_f64 v[6:7], v[152:153], s[22:23], -v[12:13]
	v_mul_f64_e32 v[144:145], s[38:39], v[158:159]
	v_fma_f64 v[12:13], v[152:153], s[22:23], v[12:13]
	s_delay_alu instid0(VALU_DEP_3) | instskip(NEXT) | instid1(VALU_DEP_3)
	v_add_f64_e32 v[6:7], v[6:7], v[150:151]
	v_fma_f64 v[146:147], v[156:157], s[2:3], -v[144:145]
	s_delay_alu instid0(VALU_DEP_3) | instskip(SKIP_2) | instid1(VALU_DEP_4)
	v_add_f64_e32 v[10:11], v[12:13], v[10:11]
	v_fma_f64 v[12:13], v[162:163], s[2:3], -v[22:23]
	v_fma_f64 v[22:23], v[200:201], s[16:17], v[30:31]
	v_add_f64_e32 v[6:7], v[146:147], v[6:7]
	v_mul_f64_e32 v[146:147], s[34:35], v[180:181]
	s_delay_alu instid0(VALU_DEP_4) | instskip(SKIP_1) | instid1(VALU_DEP_3)
	v_add_f64_e32 v[8:9], v[12:13], v[8:9]
	v_fma_f64 v[12:13], v[156:157], s[2:3], v[144:145]
	v_fma_f64 v[148:149], v[166:167], s[20:21], v[146:147]
	s_delay_alu instid0(VALU_DEP_2) | instskip(SKIP_1) | instid1(VALU_DEP_3)
	v_add_f64_e32 v[10:11], v[12:13], v[10:11]
	v_fma_f64 v[12:13], v[166:167], s[20:21], -v[146:147]
	v_add_f64_e32 v[4:5], v[148:149], v[4:5]
	v_mul_f64_e32 v[148:149], s[34:35], v[182:183]
	s_delay_alu instid0(VALU_DEP_3) | instskip(NEXT) | instid1(VALU_DEP_2)
	v_add_f64_e32 v[8:9], v[12:13], v[8:9]
	v_fma_f64 v[150:151], v[160:161], s[20:21], -v[148:149]
	v_fma_f64 v[12:13], v[160:161], s[20:21], v[148:149]
	s_delay_alu instid0(VALU_DEP_2) | instskip(SKIP_1) | instid1(VALU_DEP_3)
	v_add_f64_e32 v[6:7], v[150:151], v[6:7]
	v_mul_f64_e32 v[150:151], s[24:25], v[192:193]
	v_add_f64_e32 v[10:11], v[12:13], v[10:11]
	s_delay_alu instid0(VALU_DEP_2) | instskip(SKIP_1) | instid1(VALU_DEP_2)
	v_fma_f64 v[231:232], v[170:171], s[10:11], v[150:151]
	v_fma_f64 v[12:13], v[170:171], s[10:11], -v[150:151]
	v_add_f64_e32 v[4:5], v[231:232], v[4:5]
	v_mul_f64_e32 v[231:232], s[24:25], v[194:195]
	s_delay_alu instid0(VALU_DEP_3) | instskip(NEXT) | instid1(VALU_DEP_2)
	v_add_f64_e32 v[8:9], v[12:13], v[8:9]
	v_fma_f64 v[237:238], v[164:165], s[10:11], -v[231:232]
	v_fma_f64 v[12:13], v[164:165], s[10:11], v[231:232]
	v_mul_f64_e32 v[231:232], s[50:51], v[182:183]
	s_delay_alu instid0(VALU_DEP_3) | instskip(SKIP_1) | instid1(VALU_DEP_4)
	v_add_f64_e32 v[6:7], v[237:238], v[6:7]
	v_mul_f64_e32 v[237:238], s[44:45], v[196:197]
	v_add_f64_e32 v[10:11], v[12:13], v[10:11]
	s_delay_alu instid0(VALU_DEP_2) | instskip(SKIP_2) | instid1(VALU_DEP_3)
	v_fma_f64 v[235:236], v[188:189], s[18:19], v[237:238]
	v_fma_f64 v[12:13], v[188:189], s[18:19], -v[237:238]
	v_mul_f64_e32 v[237:238], s[28:29], v[194:195]
	v_add_f64_e32 v[4:5], v[235:236], v[4:5]
	v_mul_f64_e32 v[235:236], s[44:45], v[198:199]
	s_delay_alu instid0(VALU_DEP_4) | instskip(NEXT) | instid1(VALU_DEP_2)
	v_add_f64_e32 v[8:9], v[12:13], v[8:9]
	v_fma_f64 v[249:250], v[168:169], s[18:19], -v[235:236]
	v_fma_f64 v[12:13], v[168:169], s[18:19], v[235:236]
	v_mul_f64_e32 v[235:236], s[28:29], v[192:193]
	s_delay_alu instid0(VALU_DEP_3) | instskip(SKIP_1) | instid1(VALU_DEP_4)
	v_add_f64_e32 v[6:7], v[249:250], v[6:7]
	v_mul_f64_e32 v[249:250], s[46:47], v[208:209]
	v_add_f64_e32 v[10:11], v[12:13], v[10:11]
	s_delay_alu instid0(VALU_DEP_2) | instskip(SKIP_2) | instid1(VALU_DEP_3)
	v_fma_f64 v[253:254], v[186:187], s[14:15], v[249:250]
	v_fma_f64 v[12:13], v[186:187], s[14:15], -v[249:250]
	v_mul_f64_e32 v[249:250], s[34:35], v[208:209]
	v_add_f64_e32 v[4:5], v[253:254], v[4:5]
	v_mul_f64_e32 v[253:254], s[46:47], v[190:191]
	s_delay_alu instid0(VALU_DEP_4) | instskip(NEXT) | instid1(VALU_DEP_2)
	v_add_f64_e32 v[8:9], v[12:13], v[8:9]
	v_fma_f64 v[12:13], v[184:185], s[14:15], v[253:254]
	v_fma_f64 v[251:252], v[184:185], s[14:15], -v[253:254]
	v_mul_f64_e32 v[253:254], s[46:47], v[206:207]
	s_delay_alu instid0(VALU_DEP_3) | instskip(SKIP_1) | instid1(VALU_DEP_4)
	v_add_f64_e32 v[10:11], v[12:13], v[10:11]
	v_fma_f64 v[12:13], v[204:205], s[16:17], -v[28:29]
	v_add_f64_e32 v[251:252], v[251:252], v[6:7]
	v_fma_f64 v[6:7], v[204:205], s[16:17], v[28:29]
	v_mul_f64_e32 v[28:29], s[42:43], v[176:177]
	v_add_f64_e32 v[144:145], v[22:23], v[10:11]
	v_add_f64_e32 v[146:147], v[12:13], v[8:9]
	v_mul_f64_e32 v[8:9], s[44:45], v[210:211]
	v_add_f64_e32 v[6:7], v[6:7], v[4:5]
	v_fma_f64 v[4:5], v[200:201], s[16:17], -v[30:31]
	v_mul_f64_e32 v[12:13], s[44:45], v[178:179]
	v_fma_f64 v[30:31], v[162:163], s[16:17], v[28:29]
	v_fma_f64 v[10:11], v[154:155], s[18:19], v[8:9]
	v_fma_f64 v[8:9], v[154:155], s[18:19], -v[8:9]
	v_add_f64_e32 v[4:5], v[4:5], v[251:252]
	v_fma_f64 v[22:23], v[152:153], s[18:19], -v[12:13]
	v_fma_f64 v[12:13], v[152:153], s[18:19], v[12:13]
	v_mul_f64_e32 v[251:252], s[34:35], v[190:191]
	v_add_f64_e32 v[10:11], v[10:11], v[216:217]
	v_mul_f64_e32 v[216:217], s[50:51], v[180:181]
	v_add_f64_e32 v[8:9], v[8:9], v[14:15]
	v_add_f64_e32 v[22:23], v[22:23], v[241:242]
	v_fma_f64 v[14:15], v[162:163], s[16:17], -v[28:29]
	v_add_f64_e32 v[12:13], v[12:13], v[224:225]
	v_mul_f64_e32 v[241:242], s[30:31], v[198:199]
	v_mul_f64_e32 v[28:29], s[52:53], v[210:211]
	v_add_f64_e32 v[10:11], v[30:31], v[10:11]
	v_mul_f64_e32 v[30:31], s[42:43], v[158:159]
	v_add_f64_e32 v[8:9], v[14:15], v[8:9]
	s_delay_alu instid0(VALU_DEP_2) | instskip(SKIP_2) | instid1(VALU_DEP_3)
	v_fma_f64 v[148:149], v[156:157], s[16:17], -v[30:31]
	v_fma_f64 v[14:15], v[156:157], s[16:17], v[30:31]
	v_mul_f64_e32 v[30:31], s[52:53], v[178:179]
	v_add_f64_e32 v[22:23], v[148:149], v[22:23]
	v_fma_f64 v[148:149], v[166:167], s[10:11], v[216:217]
	s_delay_alu instid0(VALU_DEP_4) | instskip(SKIP_2) | instid1(VALU_DEP_4)
	v_add_f64_e32 v[12:13], v[14:15], v[12:13]
	v_fma_f64 v[14:15], v[166:167], s[10:11], -v[216:217]
	v_mul_f64_e32 v[216:217], s[28:29], v[158:159]
	v_add_f64_e32 v[10:11], v[148:149], v[10:11]
	v_fma_f64 v[148:149], v[160:161], s[10:11], -v[231:232]
	s_delay_alu instid0(VALU_DEP_4) | instskip(SKIP_2) | instid1(VALU_DEP_4)
	v_add_f64_e32 v[8:9], v[14:15], v[8:9]
	v_fma_f64 v[14:15], v[160:161], s[10:11], v[231:232]
	v_mul_f64_e32 v[231:232], s[38:39], v[180:181]
	v_add_f64_e32 v[22:23], v[148:149], v[22:23]
	v_fma_f64 v[148:149], v[170:171], s[22:23], v[235:236]
	s_delay_alu instid0(VALU_DEP_4) | instskip(SKIP_2) | instid1(VALU_DEP_4)
	v_add_f64_e32 v[12:13], v[14:15], v[12:13]
	v_fma_f64 v[14:15], v[170:171], s[22:23], -v[235:236]
	v_mul_f64_e32 v[235:236], s[38:39], v[182:183]
	v_add_f64_e32 v[10:11], v[148:149], v[10:11]
	v_fma_f64 v[148:149], v[164:165], s[22:23], -v[237:238]
	s_delay_alu instid0(VALU_DEP_4) | instskip(SKIP_2) | instid1(VALU_DEP_4)
	v_add_f64_e32 v[8:9], v[14:15], v[8:9]
	v_fma_f64 v[14:15], v[164:165], s[22:23], v[237:238]
	v_mul_f64_e32 v[237:238], s[26:27], v[192:193]
	v_add_f64_e32 v[22:23], v[148:149], v[22:23]
	v_fma_f64 v[148:149], v[188:189], s[0:1], v[239:240]
	s_delay_alu instid0(VALU_DEP_4) | instskip(SKIP_2) | instid1(VALU_DEP_4)
	v_add_f64_e32 v[12:13], v[14:15], v[12:13]
	v_fma_f64 v[14:15], v[188:189], s[0:1], -v[239:240]
	v_mul_f64_e32 v[239:240], s[26:27], v[194:195]
	v_add_f64_e32 v[10:11], v[148:149], v[10:11]
	v_fma_f64 v[148:149], v[168:169], s[0:1], -v[241:242]
	s_delay_alu instid0(VALU_DEP_4)
	v_add_f64_e32 v[8:9], v[14:15], v[8:9]
	v_fma_f64 v[14:15], v[168:169], s[0:1], v[241:242]
	v_mul_f64_e32 v[241:242], s[48:49], v[196:197]
	v_mul_f64_e32 v[196:197], s[26:27], v[196:197]
	v_add_f64_e32 v[22:23], v[148:149], v[22:23]
	v_fma_f64 v[148:149], v[186:187], s[20:21], v[249:250]
	v_add_f64_e32 v[12:13], v[14:15], v[12:13]
	v_fma_f64 v[14:15], v[186:187], s[20:21], -v[249:250]
	v_mul_f64_e32 v[249:250], s[30:31], v[208:209]
	v_mul_f64_e32 v[208:209], s[28:29], v[208:209]
	v_add_f64_e32 v[10:11], v[148:149], v[10:11]
	v_fma_f64 v[148:149], v[184:185], s[20:21], -v[251:252]
	v_add_f64_e32 v[8:9], v[14:15], v[8:9]
	v_fma_f64 v[14:15], v[184:185], s[20:21], v[251:252]
	v_mul_f64_e32 v[251:252], s[30:31], v[190:191]
	s_delay_alu instid0(VALU_DEP_4) | instskip(SKIP_1) | instid1(VALU_DEP_4)
	v_add_f64_e32 v[22:23], v[148:149], v[22:23]
	v_fma_f64 v[148:149], v[204:205], s[14:15], v[253:254]
	v_add_f64_e32 v[12:13], v[14:15], v[12:13]
	v_fma_f64 v[14:15], v[204:205], s[14:15], -v[253:254]
	v_mul_f64_e32 v[253:254], s[44:45], v[206:207]
	v_mul_f64_e32 v[206:207], s[24:25], v[206:207]
	v_add_f64_e32 v[150:151], v[148:149], v[10:11]
	v_mul_f64_e32 v[10:11], s[46:47], v[202:203]
	s_mov_b32 s47, 0x3fe0d888
	s_mov_b32 s46, s38
	s_wait_alu 0xfffe
	v_mul_f64_e32 v[68:69], s[46:47], v[192:193]
	v_mul_f64_e32 v[192:193], s[30:31], v[192:193]
	s_delay_alu instid0(VALU_DEP_3) | instskip(NEXT) | instid1(VALU_DEP_3)
	v_fma_f64 v[148:149], v[200:201], s[14:15], -v[10:11]
	v_fma_f64 v[70:71], v[170:171], s[2:3], -v[68:69]
	s_delay_alu instid0(VALU_DEP_2) | instskip(SKIP_4) | instid1(VALU_DEP_4)
	v_add_f64_e32 v[148:149], v[148:149], v[22:23]
	v_fma_f64 v[22:23], v[200:201], s[14:15], v[10:11]
	v_add_f64_e32 v[10:11], v[14:15], v[8:9]
	v_fma_f64 v[14:15], v[152:153], s[14:15], -v[30:31]
	v_fma_f64 v[30:31], v[152:153], s[14:15], v[30:31]
	v_add_f64_e32 v[8:9], v[22:23], v[12:13]
	v_fma_f64 v[12:13], v[154:155], s[14:15], v[28:29]
	s_delay_alu instid0(VALU_DEP_4)
	v_add_f64_e32 v[14:15], v[14:15], v[243:244]
	v_mul_f64_e32 v[243:244], s[48:49], v[198:199]
	v_fma_f64 v[28:29], v[154:155], s[14:15], -v[28:29]
	v_add_f64_e32 v[30:31], v[30:31], v[226:227]
	v_add_f64_e32 v[12:13], v[12:13], v[172:173]
	v_mul_f64_e32 v[172:173], s[28:29], v[176:177]
	s_delay_alu instid0(VALU_DEP_1) | instskip(NEXT) | instid1(VALU_DEP_1)
	v_fma_f64 v[22:23], v[162:163], s[22:23], v[172:173]
	v_add_f64_e32 v[12:13], v[22:23], v[12:13]
	v_fma_f64 v[22:23], v[156:157], s[22:23], -v[216:217]
	s_delay_alu instid0(VALU_DEP_1) | instskip(SKIP_1) | instid1(VALU_DEP_1)
	v_add_f64_e32 v[14:15], v[22:23], v[14:15]
	v_fma_f64 v[22:23], v[166:167], s[2:3], v[231:232]
	v_add_f64_e32 v[12:13], v[22:23], v[12:13]
	v_fma_f64 v[22:23], v[160:161], s[2:3], -v[235:236]
	s_delay_alu instid0(VALU_DEP_1) | instskip(SKIP_1) | instid1(VALU_DEP_1)
	v_add_f64_e32 v[14:15], v[22:23], v[14:15]
	;; [unrolled: 5-line block ×5, first 2 shown]
	v_fma_f64 v[14:15], v[204:205], s[18:19], v[253:254]
	v_add_f64_e32 v[14:15], v[14:15], v[12:13]
	v_fma_f64 v[12:13], v[200:201], s[18:19], -v[32:33]
	v_fma_f64 v[32:33], v[200:201], s[18:19], v[32:33]
	s_delay_alu instid0(VALU_DEP_2) | instskip(SKIP_1) | instid1(VALU_DEP_1)
	v_add_f64_e32 v[12:13], v[12:13], v[22:23]
	v_fma_f64 v[22:23], v[154:155], s[20:21], -v[34:35]
	v_add_f64_e32 v[16:17], v[22:23], v[16:17]
	v_fma_f64 v[22:23], v[152:153], s[20:21], v[0:1]
	v_fma_f64 v[0:1], v[152:153], s[20:21], -v[0:1]
	s_delay_alu instid0(VALU_DEP_2) | instskip(SKIP_1) | instid1(VALU_DEP_1)
	v_add_f64_e32 v[18:19], v[22:23], v[18:19]
	v_fma_f64 v[22:23], v[162:163], s[18:19], -v[36:37]
	v_add_f64_e32 v[16:17], v[22:23], v[16:17]
	v_fma_f64 v[22:23], v[156:157], s[18:19], v[38:39]
	s_delay_alu instid0(VALU_DEP_1) | instskip(SKIP_1) | instid1(VALU_DEP_1)
	v_add_f64_e32 v[18:19], v[22:23], v[18:19]
	v_fma_f64 v[22:23], v[166:167], s[16:17], -v[40:41]
	v_add_f64_e32 v[16:17], v[22:23], v[16:17]
	v_fma_f64 v[22:23], v[160:161], s[16:17], v[42:43]
	s_delay_alu instid0(VALU_DEP_1) | instskip(SKIP_2) | instid1(VALU_DEP_2)
	v_add_f64_e32 v[18:19], v[22:23], v[18:19]
	v_fma_f64 v[22:23], v[170:171], s[14:15], -v[24:25]
	v_fma_f64 v[24:25], v[170:171], s[14:15], v[24:25]
	v_add_f64_e32 v[16:17], v[22:23], v[16:17]
	v_fma_f64 v[22:23], v[164:165], s[14:15], v[26:27]
	v_fma_f64 v[26:27], v[164:165], s[14:15], -v[26:27]
	s_delay_alu instid0(VALU_DEP_2) | instskip(SKIP_1) | instid1(VALU_DEP_1)
	v_add_f64_e32 v[18:19], v[22:23], v[18:19]
	v_fma_f64 v[22:23], v[188:189], s[10:11], -v[44:45]
	v_add_f64_e32 v[16:17], v[22:23], v[16:17]
	v_fma_f64 v[22:23], v[168:169], s[10:11], v[46:47]
	s_delay_alu instid0(VALU_DEP_1) | instskip(SKIP_1) | instid1(VALU_DEP_1)
	v_add_f64_e32 v[18:19], v[22:23], v[18:19]
	v_fma_f64 v[22:23], v[186:187], s[2:3], -v[48:49]
	v_add_f64_e32 v[16:17], v[22:23], v[16:17]
	v_fma_f64 v[22:23], v[184:185], s[2:3], v[50:51]
	s_delay_alu instid0(VALU_DEP_1) | instskip(SKIP_1) | instid1(VALU_DEP_1)
	;; [unrolled: 5-line block ×3, first 2 shown]
	v_add_f64_e32 v[16:17], v[16:17], v[22:23]
	v_fma_f64 v[22:23], v[154:155], s[16:17], -v[56:57]
	v_add_f64_e32 v[20:21], v[22:23], v[20:21]
	v_fma_f64 v[22:23], v[152:153], s[16:17], v[58:59]
	s_delay_alu instid0(VALU_DEP_2) | instskip(SKIP_1) | instid1(VALU_DEP_3)
	v_add_f64_e32 v[20:21], v[62:63], v[20:21]
	v_mul_f64_e32 v[62:63], s[24:25], v[158:159]
	v_add_f64_e32 v[22:23], v[22:23], v[220:221]
	s_delay_alu instid0(VALU_DEP_3) | instskip(NEXT) | instid1(VALU_DEP_3)
	v_add_f64_e32 v[20:21], v[66:67], v[20:21]
	v_fma_f64 v[220:221], v[156:157], s[10:11], v[62:63]
	v_mul_f64_e32 v[66:67], s[30:31], v[182:183]
	s_delay_alu instid0(VALU_DEP_3) | instskip(NEXT) | instid1(VALU_DEP_3)
	v_add_f64_e32 v[20:21], v[70:71], v[20:21]
	v_add_f64_e32 v[22:23], v[220:221], v[22:23]
	s_delay_alu instid0(VALU_DEP_3) | instskip(SKIP_1) | instid1(VALU_DEP_4)
	v_fma_f64 v[220:221], v[160:161], s[0:1], v[66:67]
	v_mul_f64_e32 v[70:71], s[46:47], v[194:195]
	v_add_f64_e32 v[20:21], v[74:75], v[20:21]
	v_mul_f64_e32 v[74:75], s[52:53], v[198:199]
	s_delay_alu instid0(VALU_DEP_4) | instskip(NEXT) | instid1(VALU_DEP_4)
	v_add_f64_e32 v[22:23], v[220:221], v[22:23]
	v_fma_f64 v[220:221], v[164:165], s[2:3], v[70:71]
	s_delay_alu instid0(VALU_DEP_4) | instskip(SKIP_3) | instid1(VALU_DEP_3)
	v_add_f64_e32 v[20:21], v[78:79], v[20:21]
	v_mul_f64_e32 v[78:79], s[44:45], v[190:191]
	s_mov_b32 s45, 0x3fc7851a
	s_mov_b32 s44, s30
	v_add_f64_e32 v[22:23], v[220:221], v[22:23]
	s_wait_alu 0xfffe
	v_mul_f64_e32 v[92:93], s[44:45], v[176:177]
	v_fma_f64 v[220:221], v[168:169], s[14:15], v[74:75]
	s_delay_alu instid0(VALU_DEP_2) | instskip(NEXT) | instid1(VALU_DEP_2)
	v_fma_f64 v[94:95], v[162:163], s[0:1], -v[92:93]
	v_add_f64_e32 v[22:23], v[220:221], v[22:23]
	v_fma_f64 v[220:221], v[184:185], s[18:19], v[78:79]
	s_delay_alu instid0(VALU_DEP_3) | instskip(SKIP_1) | instid1(VALU_DEP_3)
	v_add_f64_e32 v[86:87], v[94:95], v[86:87]
	v_mul_f64_e32 v[94:95], s[44:45], v[158:159]
	v_add_f64_e32 v[220:221], v[220:221], v[22:23]
	v_fma_f64 v[22:23], v[204:205], s[22:23], -v[80:81]
	s_delay_alu instid0(VALU_DEP_4) | instskip(NEXT) | instid1(VALU_DEP_4)
	v_add_f64_e32 v[86:87], v[98:99], v[86:87]
	v_fma_f64 v[218:219], v[156:157], s[0:1], v[94:95]
	v_mul_f64_e32 v[98:99], s[52:53], v[182:183]
	s_delay_alu instid0(VALU_DEP_4)
	v_add_f64_e32 v[22:23], v[22:23], v[20:21]
	v_fma_f64 v[20:21], v[200:201], s[22:23], v[82:83]
	v_add_f64_e32 v[86:87], v[102:103], v[86:87]
	v_add_f64_e32 v[90:91], v[218:219], v[90:91]
	v_fma_f64 v[218:219], v[160:161], s[14:15], v[98:99]
	v_mul_f64_e32 v[102:103], s[34:35], v[194:195]
	v_add_f64_e32 v[20:21], v[20:21], v[220:221]
	v_add_f64_e32 v[86:87], v[106:107], v[86:87]
	v_mul_f64_e32 v[106:107], s[28:29], v[198:199]
	v_add_f64_e32 v[90:91], v[218:219], v[90:91]
	v_fma_f64 v[218:219], v[164:165], s[20:21], v[102:103]
	s_delay_alu instid0(VALU_DEP_4) | instskip(SKIP_1) | instid1(VALU_DEP_3)
	v_add_f64_e32 v[86:87], v[110:111], v[86:87]
	v_mul_f64_e32 v[110:111], s[42:43], v[190:191]
	v_add_f64_e32 v[90:91], v[218:219], v[90:91]
	v_fma_f64 v[218:219], v[168:169], s[22:23], v[106:107]
	s_delay_alu instid0(VALU_DEP_4) | instskip(SKIP_1) | instid1(VALU_DEP_3)
	v_add_f64_e32 v[220:221], v[114:115], v[86:87]
	v_mul_f64_e32 v[86:87], s[38:39], v[202:203]
	v_add_f64_e32 v[90:91], v[218:219], v[90:91]
	v_fma_f64 v[218:219], v[184:185], s[16:17], v[110:111]
	s_delay_alu instid0(VALU_DEP_3) | instskip(NEXT) | instid1(VALU_DEP_2)
	v_fma_f64 v[114:115], v[200:201], s[2:3], v[86:87]
	v_add_f64_e32 v[90:91], v[218:219], v[90:91]
	s_delay_alu instid0(VALU_DEP_1) | instskip(SKIP_1) | instid1(VALU_DEP_1)
	v_add_f64_e32 v[218:219], v[114:115], v[90:91]
	v_mul_f64_e32 v[90:91], s[30:31], v[210:211]
	v_fma_f64 v[114:115], v[154:155], s[0:1], -v[90:91]
	s_delay_alu instid0(VALU_DEP_1) | instskip(SKIP_1) | instid1(VALU_DEP_2)
	v_add_f64_e32 v[2:3], v[114:115], v[2:3]
	v_mul_f64_e32 v[114:115], s[30:31], v[178:179]
	v_add_f64_e32 v[2:3], v[118:119], v[2:3]
	s_delay_alu instid0(VALU_DEP_2) | instskip(SKIP_2) | instid1(VALU_DEP_4)
	v_fma_f64 v[222:223], v[152:153], s[0:1], v[114:115]
	v_mul_f64_e32 v[118:119], s[52:53], v[158:159]
	v_mul_f64_e32 v[158:159], s[34:35], v[158:159]
	v_add_f64_e32 v[2:3], v[122:123], v[2:3]
	s_delay_alu instid0(VALU_DEP_4) | instskip(NEXT) | instid1(VALU_DEP_4)
	v_add_f64_e32 v[174:175], v[222:223], v[174:175]
	v_fma_f64 v[222:223], v[156:157], s[14:15], v[118:119]
	v_mul_f64_e32 v[122:123], s[40:41], v[182:183]
	s_delay_alu instid0(VALU_DEP_4) | instskip(SKIP_1) | instid1(VALU_DEP_4)
	v_add_f64_e32 v[2:3], v[126:127], v[2:3]
	v_mul_f64_e32 v[126:127], s[36:37], v[194:195]
	v_add_f64_e32 v[174:175], v[222:223], v[174:175]
	s_delay_alu instid0(VALU_DEP_4)
	v_fma_f64 v[222:223], v[160:161], s[22:23], v[122:123]
	v_mul_f64_e32 v[194:195], s[30:31], v[194:195]
	v_add_f64_e32 v[2:3], v[130:131], v[2:3]
	v_mul_f64_e32 v[130:131], s[38:39], v[198:199]
	v_mul_f64_e32 v[198:199], s[26:27], v[198:199]
	v_add_f64_e32 v[174:175], v[222:223], v[174:175]
	v_fma_f64 v[222:223], v[164:165], s[18:19], v[126:127]
	v_add_f64_e32 v[2:3], v[134:135], v[2:3]
	v_mul_f64_e32 v[134:135], s[50:51], v[190:191]
	v_mul_f64_e32 v[190:191], s[28:29], v[190:191]
	s_delay_alu instid0(VALU_DEP_4) | instskip(SKIP_4) | instid1(VALU_DEP_4)
	v_add_f64_e32 v[174:175], v[222:223], v[174:175]
	v_fma_f64 v[222:223], v[168:169], s[2:3], v[130:131]
	v_add_f64_e32 v[224:225], v[138:139], v[2:3]
	v_mul_f64_e32 v[2:3], s[34:35], v[202:203]
	v_mul_f64_e32 v[202:203], s[24:25], v[202:203]
	v_add_f64_e32 v[174:175], v[222:223], v[174:175]
	v_fma_f64 v[222:223], v[184:185], s[10:11], v[134:135]
	s_delay_alu instid0(VALU_DEP_4) | instskip(SKIP_1) | instid1(VALU_DEP_3)
	v_fma_f64 v[138:139], v[200:201], s[20:21], v[2:3]
	v_fma_f64 v[2:3], v[200:201], s[20:21], -v[2:3]
	v_add_f64_e32 v[174:175], v[222:223], v[174:175]
	s_delay_alu instid0(VALU_DEP_1) | instskip(SKIP_2) | instid1(VALU_DEP_2)
	v_add_f64_e32 v[222:223], v[138:139], v[174:175]
	v_mul_f64_e32 v[138:139], s[46:47], v[210:211]
	v_mul_f64_e32 v[210:211], s[46:47], v[178:179]
	v_fma_f64 v[174:175], v[154:155], s[2:3], -v[138:139]
	s_delay_alu instid0(VALU_DEP_2) | instskip(NEXT) | instid1(VALU_DEP_2)
	v_fma_f64 v[178:179], v[152:153], s[2:3], v[210:211]
	v_add_f64_e32 v[174:175], v[174:175], v[212:213]
	v_mul_f64_e32 v[212:213], s[34:35], v[176:177]
	s_delay_alu instid0(VALU_DEP_3) | instskip(SKIP_1) | instid1(VALU_DEP_3)
	v_add_f64_e32 v[178:179], v[178:179], v[229:230]
	v_mul_f64_e32 v[229:230], s[36:37], v[180:181]
	v_fma_f64 v[176:177], v[162:163], s[20:21], -v[212:213]
	s_delay_alu instid0(VALU_DEP_1) | instskip(SKIP_1) | instid1(VALU_DEP_1)
	v_add_f64_e32 v[174:175], v[176:177], v[174:175]
	v_fma_f64 v[176:177], v[156:157], s[20:21], v[158:159]
	v_add_f64_e32 v[176:177], v[176:177], v[178:179]
	v_fma_f64 v[178:179], v[166:167], s[18:19], -v[229:230]
	s_delay_alu instid0(VALU_DEP_2) | instskip(NEXT) | instid1(VALU_DEP_2)
	v_add_f64_e32 v[142:143], v[142:143], v[176:177]
	v_add_f64_e32 v[174:175], v[178:179], v[174:175]
	v_fma_f64 v[176:177], v[170:171], s[0:1], -v[192:193]
	s_delay_alu instid0(VALU_DEP_1) | instskip(SKIP_1) | instid1(VALU_DEP_1)
	v_add_f64_e32 v[174:175], v[176:177], v[174:175]
	v_fma_f64 v[176:177], v[164:165], s[0:1], v[194:195]
	v_add_f64_e32 v[142:143], v[176:177], v[142:143]
	v_fma_f64 v[176:177], v[188:189], s[16:17], -v[196:197]
	s_delay_alu instid0(VALU_DEP_1) | instskip(SKIP_1) | instid1(VALU_DEP_1)
	v_add_f64_e32 v[174:175], v[176:177], v[174:175]
	v_fma_f64 v[176:177], v[168:169], s[16:17], v[198:199]
	;; [unrolled: 5-line block ×4, first 2 shown]
	v_add_f64_e32 v[176:177], v[174:175], v[142:143]
	scratch_load_b64 v[142:143], off, off offset:664 th:TH_LOAD_LU ; 8-byte Folded Reload
	s_wait_loadcnt 0x0
	v_add_f64_e32 v[28:29], v[28:29], v[142:143]
	v_fma_f64 v[142:143], v[162:163], s[22:23], -v[172:173]
	s_delay_alu instid0(VALU_DEP_1) | instskip(SKIP_1) | instid1(VALU_DEP_1)
	v_add_f64_e32 v[28:29], v[142:143], v[28:29]
	v_fma_f64 v[142:143], v[156:157], s[22:23], v[216:217]
	v_add_f64_e32 v[30:31], v[142:143], v[30:31]
	v_fma_f64 v[142:143], v[166:167], s[2:3], -v[231:232]
	s_delay_alu instid0(VALU_DEP_1) | instskip(SKIP_1) | instid1(VALU_DEP_1)
	v_add_f64_e32 v[28:29], v[142:143], v[28:29]
	v_fma_f64 v[142:143], v[160:161], s[2:3], v[235:236]
	;; [unrolled: 5-line block ×5, first 2 shown]
	v_add_f64_e32 v[30:31], v[142:143], v[30:31]
	v_fma_f64 v[142:143], v[204:205], s[18:19], -v[253:254]
	s_delay_alu instid0(VALU_DEP_2)
	v_add_f64_e32 v[180:181], v[32:33], v[30:31]
	scratch_load_b64 v[30:31], off, off offset:656 th:TH_LOAD_LU ; 8-byte Folded Reload
	v_add_f64_e32 v[182:183], v[142:143], v[28:29]
	v_fma_f64 v[28:29], v[154:155], s[2:3], v[138:139]
	v_fma_f64 v[32:33], v[162:163], s[20:21], v[212:213]
	v_fma_f64 v[138:139], v[200:201], s[10:11], -v[202:203]
	s_wait_loadcnt 0x0
	s_delay_alu instid0(VALU_DEP_3) | instskip(SKIP_1) | instid1(VALU_DEP_2)
	v_add_f64_e32 v[28:29], v[28:29], v[30:31]
	v_fma_f64 v[30:31], v[152:153], s[2:3], -v[210:211]
	v_add_f64_e32 v[28:29], v[32:33], v[28:29]
	s_delay_alu instid0(VALU_DEP_2) | instskip(SKIP_1) | instid1(VALU_DEP_1)
	v_add_f64_e32 v[30:31], v[30:31], v[245:246]
	v_fma_f64 v[32:33], v[156:157], s[20:21], -v[158:159]
	v_add_f64_e32 v[30:31], v[32:33], v[30:31]
	v_fma_f64 v[32:33], v[166:167], s[18:19], v[229:230]
	s_delay_alu instid0(VALU_DEP_1) | instskip(SKIP_1) | instid1(VALU_DEP_1)
	v_add_f64_e32 v[28:29], v[32:33], v[28:29]
	v_fma_f64 v[32:33], v[160:161], s[18:19], -v[140:141]
	v_add_f64_e32 v[30:31], v[32:33], v[30:31]
	v_fma_f64 v[32:33], v[170:171], s[0:1], v[192:193]
	s_delay_alu instid0(VALU_DEP_1) | instskip(SKIP_1) | instid1(VALU_DEP_1)
	;; [unrolled: 5-line block ×4, first 2 shown]
	v_add_f64_e32 v[28:29], v[32:33], v[28:29]
	v_fma_f64 v[32:33], v[184:185], s[22:23], -v[190:191]
	v_add_f64_e32 v[30:31], v[32:33], v[30:31]
	v_fma_f64 v[32:33], v[204:205], s[10:11], v[206:207]
	s_delay_alu instid0(VALU_DEP_2) | instskip(NEXT) | instid1(VALU_DEP_2)
	v_add_f64_e32 v[190:191], v[138:139], v[30:31]
	v_add_f64_e32 v[192:193], v[32:33], v[28:29]
	v_fma_f64 v[28:29], v[154:155], s[0:1], v[90:91]
	v_fma_f64 v[30:31], v[162:163], s[14:15], v[116:117]
	v_fma_f64 v[32:33], v[156:157], s[14:15], -v[118:119]
	s_delay_alu instid0(VALU_DEP_3) | instskip(NEXT) | instid1(VALU_DEP_1)
	v_add_f64_e32 v[28:29], v[28:29], v[214:215]
	v_add_f64_e32 v[28:29], v[30:31], v[28:29]
	v_fma_f64 v[30:31], v[166:167], s[22:23], v[120:121]
	s_delay_alu instid0(VALU_DEP_1) | instskip(SKIP_1) | instid1(VALU_DEP_1)
	v_add_f64_e32 v[28:29], v[30:31], v[28:29]
	v_fma_f64 v[30:31], v[170:171], s[18:19], v[124:125]
	v_add_f64_e32 v[28:29], v[30:31], v[28:29]
	v_fma_f64 v[30:31], v[188:189], s[2:3], v[128:129]
	s_delay_alu instid0(VALU_DEP_1) | instskip(SKIP_1) | instid1(VALU_DEP_1)
	v_add_f64_e32 v[28:29], v[30:31], v[28:29]
	v_fma_f64 v[30:31], v[152:153], s[0:1], -v[114:115]
	v_add_f64_e32 v[30:31], v[30:31], v[247:248]
	s_delay_alu instid0(VALU_DEP_1) | instskip(SKIP_1) | instid1(VALU_DEP_1)
	v_add_f64_e32 v[30:31], v[32:33], v[30:31]
	v_fma_f64 v[32:33], v[160:161], s[22:23], -v[122:123]
	v_add_f64_e32 v[30:31], v[32:33], v[30:31]
	v_fma_f64 v[32:33], v[164:165], s[18:19], -v[126:127]
	s_delay_alu instid0(VALU_DEP_1) | instskip(SKIP_1) | instid1(VALU_DEP_1)
	v_add_f64_e32 v[30:31], v[32:33], v[30:31]
	v_fma_f64 v[32:33], v[168:169], s[2:3], -v[130:131]
	v_add_f64_e32 v[30:31], v[32:33], v[30:31]
	v_fma_f64 v[32:33], v[186:187], s[10:11], v[132:133]
	s_delay_alu instid0(VALU_DEP_1) | instskip(SKIP_1) | instid1(VALU_DEP_1)
	v_add_f64_e32 v[28:29], v[32:33], v[28:29]
	v_fma_f64 v[32:33], v[184:185], s[10:11], -v[134:135]
	v_add_f64_e32 v[30:31], v[32:33], v[30:31]
	v_fma_f64 v[32:33], v[204:205], s[20:21], v[136:137]
	s_delay_alu instid0(VALU_DEP_2) | instskip(NEXT) | instid1(VALU_DEP_2)
	v_add_f64_e32 v[194:195], v[2:3], v[30:31]
	v_add_f64_e32 v[196:197], v[32:33], v[28:29]
	s_clause 0x1
	scratch_load_b64 v[28:29], off, off offset:648 th:TH_LOAD_LU
	scratch_load_b64 v[30:31], off, off offset:640 th:TH_LOAD_LU
	v_fma_f64 v[2:3], v[154:155], s[10:11], v[84:85]
	v_fma_f64 v[32:33], v[200:201], s[2:3], -v[86:87]
	s_wait_loadcnt 0x1
	s_delay_alu instid0(VALU_DEP_2) | instskip(SKIP_2) | instid1(VALU_DEP_1)
	v_add_f64_e32 v[2:3], v[2:3], v[28:29]
	v_fma_f64 v[28:29], v[152:153], s[10:11], -v[88:89]
	s_wait_loadcnt 0x0
	v_add_f64_e32 v[28:29], v[28:29], v[30:31]
	v_fma_f64 v[30:31], v[162:163], s[0:1], v[92:93]
	s_delay_alu instid0(VALU_DEP_1) | instskip(SKIP_1) | instid1(VALU_DEP_1)
	v_add_f64_e32 v[2:3], v[30:31], v[2:3]
	v_fma_f64 v[30:31], v[156:157], s[0:1], -v[94:95]
	v_add_f64_e32 v[28:29], v[30:31], v[28:29]
	v_fma_f64 v[30:31], v[166:167], s[14:15], v[96:97]
	s_delay_alu instid0(VALU_DEP_1) | instskip(SKIP_1) | instid1(VALU_DEP_1)
	v_add_f64_e32 v[2:3], v[30:31], v[2:3]
	v_fma_f64 v[30:31], v[160:161], s[14:15], -v[98:99]
	;; [unrolled: 5-line block ×5, first 2 shown]
	v_add_f64_e32 v[28:29], v[30:31], v[28:29]
	v_fma_f64 v[30:31], v[204:205], s[2:3], v[112:113]
	s_delay_alu instid0(VALU_DEP_2)
	v_add_f64_e32 v[206:207], v[32:33], v[28:29]
	scratch_load_b64 v[28:29], off, off offset:632 th:TH_LOAD_LU ; 8-byte Folded Reload
	v_add_f64_e32 v[208:209], v[30:31], v[2:3]
	scratch_load_b64 v[30:31], off, off offset:624 th:TH_LOAD_LU ; 8-byte Folded Reload
	v_fma_f64 v[2:3], v[154:155], s[16:17], v[56:57]
	v_fma_f64 v[32:33], v[200:201], s[22:23], -v[82:83]
	s_wait_loadcnt 0x1
	s_delay_alu instid0(VALU_DEP_2) | instskip(SKIP_2) | instid1(VALU_DEP_1)
	v_add_f64_e32 v[2:3], v[2:3], v[28:29]
	v_fma_f64 v[28:29], v[152:153], s[16:17], -v[58:59]
	s_wait_loadcnt 0x0
	v_add_f64_e32 v[28:29], v[28:29], v[30:31]
	v_fma_f64 v[30:31], v[162:163], s[10:11], v[60:61]
	s_delay_alu instid0(VALU_DEP_1) | instskip(SKIP_1) | instid1(VALU_DEP_1)
	v_add_f64_e32 v[2:3], v[30:31], v[2:3]
	v_fma_f64 v[30:31], v[156:157], s[10:11], -v[62:63]
	v_add_f64_e32 v[28:29], v[30:31], v[28:29]
	v_fma_f64 v[30:31], v[166:167], s[0:1], v[64:65]
	s_delay_alu instid0(VALU_DEP_1) | instskip(SKIP_1) | instid1(VALU_DEP_1)
	v_add_f64_e32 v[2:3], v[30:31], v[2:3]
	v_fma_f64 v[30:31], v[160:161], s[0:1], -v[66:67]
	;; [unrolled: 5-line block ×5, first 2 shown]
	v_add_f64_e32 v[28:29], v[30:31], v[28:29]
	v_fma_f64 v[30:31], v[204:205], s[22:23], v[80:81]
	s_delay_alu instid0(VALU_DEP_2) | instskip(NEXT) | instid1(VALU_DEP_2)
	v_add_f64_e32 v[210:211], v[32:33], v[28:29]
	v_add_f64_e32 v[212:213], v[30:31], v[2:3]
	s_clause 0x1
	scratch_load_b64 v[30:31], off, off offset:616 th:TH_LOAD_LU
	scratch_load_b64 v[32:33], off, off offset:608 th:TH_LOAD_LU
	v_fma_f64 v[2:3], v[154:155], s[20:21], v[34:35]
	v_fma_f64 v[28:29], v[162:163], s[18:19], v[36:37]
	s_wait_loadcnt 0x1
	s_delay_alu instid0(VALU_DEP_2) | instskip(SKIP_4) | instid1(VALU_DEP_4)
	v_add_f64_e32 v[2:3], v[2:3], v[30:31]
	v_fma_f64 v[30:31], v[156:157], s[18:19], -v[38:39]
	s_wait_loadcnt 0x0
	v_add_f64_e32 v[0:1], v[0:1], v[32:33]
	v_fma_f64 v[32:33], v[166:167], s[16:17], v[40:41]
	v_add_f64_e32 v[2:3], v[28:29], v[2:3]
	v_fma_f64 v[28:29], v[160:161], s[16:17], -v[42:43]
	s_delay_alu instid0(VALU_DEP_4) | instskip(NEXT) | instid1(VALU_DEP_3)
	v_add_f64_e32 v[0:1], v[30:31], v[0:1]
	v_add_f64_e32 v[2:3], v[32:33], v[2:3]
	s_delay_alu instid0(VALU_DEP_2) | instskip(SKIP_1) | instid1(VALU_DEP_3)
	v_add_f64_e32 v[0:1], v[28:29], v[0:1]
	v_fma_f64 v[28:29], v[188:189], s[10:11], v[44:45]
	v_add_f64_e32 v[2:3], v[24:25], v[2:3]
	v_fma_f64 v[24:25], v[168:169], s[10:11], -v[46:47]
	s_delay_alu instid0(VALU_DEP_4) | instskip(SKIP_1) | instid1(VALU_DEP_4)
	v_add_f64_e32 v[0:1], v[26:27], v[0:1]
	v_fma_f64 v[26:27], v[186:187], s[2:3], v[48:49]
	v_add_f64_e32 v[2:3], v[28:29], v[2:3]
	v_fma_f64 v[28:29], v[184:185], s[2:3], -v[50:51]
	s_delay_alu instid0(VALU_DEP_4)
	v_add_f64_e32 v[0:1], v[24:25], v[0:1]
	v_fma_f64 v[24:25], v[204:205], s[0:1], v[52:53]
	v_add_nc_u32_e32 v204, 0xaa0, v234
	v_dual_mov_b32 v226, v233 :: v_dual_add_nc_u32 v205, 0x550, v234
	v_add_f64_e32 v[2:3], v[26:27], v[2:3]
	v_fma_f64 v[26:27], v[200:201], s[0:1], -v[54:55]
	v_add_f64_e32 v[0:1], v[28:29], v[0:1]
	s_delay_alu instid0(VALU_DEP_3) | instskip(NEXT) | instid1(VALU_DEP_2)
	v_add_f64_e32 v[154:155], v[24:25], v[2:3]
	v_add_f64_e32 v[152:153], v[26:27], v[0:1]
	s_clause 0x1
	scratch_load_b32 v1, off, off offset:604 th:TH_LOAD_LU
	scratch_load_b128 v[24:27], off, off offset:588 th:TH_LOAD_LU
	v_mul_lo_u16 v0, v226, 17
	s_delay_alu instid0(VALU_DEP_1) | instskip(SKIP_1) | instid1(VALU_DEP_1)
	v_and_b32_e32 v0, 0xffff, v0
	s_wait_loadcnt 0x1
	v_lshl_add_u32 v0, v0, 4, v1
	s_wait_loadcnt 0x0
	ds_store_b128 v0, v[24:27]
	ds_store_b128 v0, v[16:19] offset:16
	ds_store_b128 v0, v[20:23] offset:32
	;; [unrolled: 1-line block ×4, first 2 shown]
	scratch_load_b64 v[221:222], off, off offset:580 ; 8-byte Folded Reload
	ds_store_b128 v0, v[176:179] offset:80
	ds_store_b128 v0, v[180:183] offset:96
	ds_store_b128 v0, v[8:11] offset:112
	ds_store_b128 v0, v[144:147] offset:128
	ds_store_b128 v0, v[4:7] offset:144
	ds_store_b128 v0, v[148:151] offset:160
	ds_store_b128 v0, v[12:15] offset:176
	ds_store_b128 v0, v[190:193] offset:192
	ds_store_b128 v0, v[194:197] offset:208
	ds_store_b128 v0, v[206:209] offset:224
	ds_store_b128 v0, v[210:213] offset:240
	ds_store_b128 v0, v[152:155] offset:256
.LBB0_13:
	s_or_b32 exec_lo, exec_lo, s33
	global_wb scope:SCOPE_SE
	s_wait_storecnt 0x0
	s_wait_loadcnt_dscnt 0x0
	s_barrier_signal -1
	s_barrier_wait -1
	global_inv scope:SCOPE_SE
	ds_load_b128 v[0:3], v228 offset:6800
	ds_load_b128 v[4:7], v228 offset:13600
	;; [unrolled: 1-line block ×11, first 2 shown]
	s_clause 0x1
	scratch_load_b128 v[64:67], off, off th:TH_LOAD_LU
	scratch_load_b128 v[80:83], off, off offset:164 th:TH_LOAD_LU
	s_mov_b32 s0, 0xe8584caa
	s_mov_b32 s1, 0xbfebb67a
	;; [unrolled: 1-line block ×3, first 2 shown]
	s_wait_alu 0xfffe
	s_mov_b32 s2, s0
	s_mov_b32 s10, 0x134454ff
	;; [unrolled: 1-line block ×4, first 2 shown]
	s_wait_alu 0xfffe
	s_mov_b32 s14, s10
	s_mov_b32 s16, 0x372fe950
	;; [unrolled: 1-line block ×3, first 2 shown]
	scratch_load_b128 v[86:89], off, off offset:196 th:TH_LOAD_LU ; 16-byte Folded Reload
	s_wait_loadcnt_dscnt 0x20a
	v_mul_f64_e32 v[24:25], v[66:67], v[2:3]
	v_mul_f64_e32 v[26:27], v[66:67], v[0:1]
	scratch_load_b128 v[66:69], off, off offset:16 th:TH_LOAD_LU ; 16-byte Folded Reload
	s_wait_loadcnt_dscnt 0x204
	v_mul_f64_e32 v[48:49], v[82:83], v[146:147]
	v_mul_f64_e32 v[52:53], v[82:83], v[144:145]
	;; [unrolled: 4-line block ×3, first 2 shown]
	v_fma_f64 v[24:25], v[64:65], v[0:1], v[24:25]
	v_fma_f64 v[26:27], v[64:65], v[2:3], -v[26:27]
	ds_load_b128 v[0:3], v228
	s_wait_loadcnt 0x1
	v_mul_f64_e32 v[28:29], v[68:69], v[6:7]
	v_mul_f64_e32 v[30:31], v[68:69], v[4:5]
	scratch_load_b128 v[68:71], off, off offset:32 th:TH_LOAD_LU ; 16-byte Folded Reload
	s_wait_loadcnt_dscnt 0x102
	v_mul_f64_e32 v[62:63], v[84:85], v[156:157]
	v_mul_f64_e32 v[58:59], v[84:85], v[158:159]
	v_fma_f64 v[28:29], v[66:67], v[4:5], v[28:29]
	v_fma_f64 v[30:31], v[66:67], v[6:7], -v[30:31]
	ds_load_b128 v[4:7], v228 offset:1360
	v_add_f64_e64 v[96:97], v[24:25], -v[28:29]
	s_wait_loadcnt 0x0
	v_mul_f64_e32 v[32:33], v[70:71], v[10:11]
	v_mul_f64_e32 v[34:35], v[70:71], v[8:9]
	scratch_load_b128 v[70:73], off, off offset:48 th:TH_LOAD_LU ; 16-byte Folded Reload
	v_fma_f64 v[32:33], v[68:69], v[8:9], v[32:33]
	v_fma_f64 v[34:35], v[68:69], v[10:11], -v[34:35]
	s_wait_loadcnt 0x0
	v_mul_f64_e32 v[36:37], v[72:73], v[14:15]
	v_mul_f64_e32 v[38:39], v[72:73], v[12:13]
	scratch_load_b128 v[72:75], off, off offset:64 th:TH_LOAD_LU ; 16-byte Folded Reload
	v_fma_f64 v[36:37], v[70:71], v[12:13], v[36:37]
	v_fma_f64 v[38:39], v[70:71], v[14:15], -v[38:39]
	;; [unrolled: 6-line block ×3, first 2 shown]
	v_fma_f64 v[40:41], v[80:81], v[144:145], v[48:49]
	v_fma_f64 v[48:49], v[86:87], v[152:153], v[56:57]
	v_add_f64_e32 v[56:57], v[24:25], v[28:29]
	s_wait_dscnt 0x2
	s_delay_alu instid0(VALU_DEP_2) | instskip(SKIP_1) | instid1(VALU_DEP_2)
	v_add_f64_e32 v[92:93], v[160:161], v[48:49]
	s_wait_dscnt 0x1
	v_fma_f64 v[56:57], v[56:57], -0.5, v[0:1]
	s_wait_loadcnt 0x0
	v_mul_f64_e32 v[44:45], v[76:77], v[22:23]
	v_mul_f64_e32 v[46:47], v[76:77], v[20:21]
	scratch_load_b128 v[76:79], off, off offset:148 th:TH_LOAD_LU ; 16-byte Folded Reload
	ds_load_b128 v[8:11], v228 offset:2720
	ds_load_b128 v[12:15], v228 offset:4080
	global_wb scope:SCOPE_SE
	s_wait_loadcnt_dscnt 0x0
	s_barrier_signal -1
	s_barrier_wait -1
	global_inv scope:SCOPE_SE
	v_add_f64_e32 v[84:85], v[8:9], v[16:17]
	v_add_f64_e32 v[88:89], v[12:13], v[40:41]
	v_fma_f64 v[20:21], v[74:75], v[20:21], v[44:45]
	v_fma_f64 v[22:23], v[74:75], v[22:23], -v[46:47]
	v_fma_f64 v[44:45], v[80:81], v[146:147], -v[52:53]
	;; [unrolled: 1-line block ×3, first 2 shown]
	v_add_f64_e32 v[60:61], v[32:33], v[36:37]
	v_add_f64_e32 v[80:81], v[4:5], v[32:33]
	v_add_f64_e64 v[32:33], v[32:33], -v[36:37]
	v_add_f64_e32 v[86:87], v[10:11], v[18:19]
	v_add_f64_e32 v[64:65], v[16:17], v[20:21]
	;; [unrolled: 1-line block ×3, first 2 shown]
	v_add_f64_e64 v[98:99], v[18:19], -v[22:23]
	v_add_f64_e64 v[100:101], v[16:17], -v[20:21]
	v_fma_f64 v[60:61], v[60:61], -0.5, v[4:5]
	v_add_f64_e32 v[4:5], v[80:81], v[36:37]
	v_add_f64_e32 v[90:91], v[14:15], v[44:45]
	;; [unrolled: 1-line block ×3, first 2 shown]
	v_fma_f64 v[64:65], v[64:65], -0.5, v[8:9]
	v_fma_f64 v[66:67], v[66:67], -0.5, v[10:11]
	v_add_f64_e32 v[8:9], v[84:85], v[20:21]
	v_add_f64_e32 v[10:11], v[86:87], v[22:23]
	v_mul_f64_e32 v[50:51], v[78:79], v[150:151]
	v_mul_f64_e32 v[54:55], v[78:79], v[148:149]
	v_add_f64_e64 v[78:79], v[26:27], -v[30:31]
	s_delay_alu instid0(VALU_DEP_3) | instskip(NEXT) | instid1(VALU_DEP_3)
	v_fma_f64 v[42:43], v[76:77], v[148:149], v[50:51]
	v_fma_f64 v[46:47], v[76:77], v[150:151], -v[54:55]
	v_fma_f64 v[54:55], v[82:83], v[158:159], -v[62:63]
	v_add_f64_e32 v[62:63], v[34:35], v[38:39]
	v_fma_f64 v[50:51], v[82:83], v[156:157], v[58:59]
	v_add_f64_e32 v[58:59], v[26:27], v[30:31]
	v_add_f64_e32 v[26:27], v[2:3], v[26:27]
	;; [unrolled: 1-line block ×3, first 2 shown]
	v_fma_f64 v[20:21], v[78:79], s[0:1], v[56:57]
	v_fma_f64 v[24:25], v[78:79], s[2:3], v[56:57]
	v_add_f64_e32 v[82:83], v[6:7], v[34:35]
	v_add_f64_e64 v[34:35], v[34:35], -v[38:39]
	v_add_f64_e32 v[68:69], v[40:41], v[42:43]
	v_add_f64_e64 v[104:105], v[40:41], -v[42:43]
	v_add_f64_e32 v[70:71], v[44:45], v[46:47]
	v_fma_f64 v[62:63], v[62:63], -0.5, v[6:7]
	v_add_f64_e64 v[102:103], v[44:45], -v[46:47]
	v_fma_f64 v[58:59], v[58:59], -0.5, v[2:3]
	v_add_f64_e32 v[2:3], v[26:27], v[30:31]
	v_add_f64_e32 v[0:1], v[76:77], v[28:29]
	v_fma_f64 v[44:45], v[98:99], s[0:1], v[64:65]
	v_add_f64_e32 v[72:73], v[48:49], v[50:51]
	v_add_f64_e32 v[6:7], v[82:83], v[38:39]
	v_fma_f64 v[28:29], v[34:35], s[0:1], v[60:61]
	v_fma_f64 v[40:41], v[34:35], s[2:3], v[60:61]
	v_add_f64_e64 v[108:109], v[48:49], -v[50:51]
	v_add_f64_e32 v[16:17], v[92:93], v[50:51]
	v_fma_f64 v[48:49], v[98:99], s[2:3], v[64:65]
	v_fma_f64 v[50:51], v[100:101], s[0:1], v[66:67]
	v_add_f64_e32 v[74:75], v[52:53], v[54:55]
	v_add_f64_e64 v[106:107], v[52:53], -v[54:55]
	v_add_f64_e32 v[18:19], v[94:95], v[54:55]
	v_fma_f64 v[68:69], v[68:69], -0.5, v[12:13]
	v_add_f64_e32 v[12:13], v[88:89], v[42:43]
	v_fma_f64 v[70:71], v[70:71], -0.5, v[14:15]
	v_fma_f64 v[30:31], v[32:33], s[2:3], v[62:63]
	v_fma_f64 v[42:43], v[32:33], s[0:1], v[62:63]
	scratch_load_b32 v32, off, off offset:144 th:TH_LOAD_LU ; 4-byte Folded Reload
	v_fma_f64 v[22:23], v[96:97], s[2:3], v[58:59]
	v_fma_f64 v[26:27], v[96:97], s[0:1], v[58:59]
	v_add_f64_e32 v[14:15], v[90:91], v[46:47]
	v_fma_f64 v[46:47], v[100:101], s[2:3], v[66:67]
	v_fma_f64 v[72:73], v[72:73], -0.5, v[160:161]
	s_wait_loadcnt 0x0
	ds_store_b128 v32, v[0:3]
	ds_store_b128 v32, v[20:23] offset:272
	ds_store_b128 v32, v[24:27] offset:544
	scratch_load_b32 v0, off, off offset:140 th:TH_LOAD_LU ; 4-byte Folded Reload
	v_fma_f64 v[52:53], v[102:103], s[0:1], v[68:69]
	v_fma_f64 v[54:55], v[104:105], s[2:3], v[70:71]
	;; [unrolled: 1-line block ×4, first 2 shown]
	v_fma_f64 v[74:75], v[74:75], -0.5, v[162:163]
	v_fma_f64 v[148:149], v[106:107], s[0:1], v[72:73]
	v_fma_f64 v[152:153], v[106:107], s[2:3], v[72:73]
	s_wait_loadcnt 0x0
	ds_store_b128 v0, v[4:7]
	ds_store_b128 v0, v[28:31] offset:272
	ds_store_b128 v0, v[40:43] offset:544
	scratch_load_b32 v0, off, off offset:136 th:TH_LOAD_LU ; 4-byte Folded Reload
	v_fma_f64 v[150:151], v[108:109], s[2:3], v[74:75]
	v_fma_f64 v[154:155], v[108:109], s[0:1], v[74:75]
	s_mov_b32 s0, 0x4755a5e
	s_mov_b32 s1, 0xbfe2cf23
	;; [unrolled: 1-line block ×3, first 2 shown]
	s_wait_alu 0xfffe
	s_mov_b32 s2, s0
	s_wait_loadcnt 0x0
	ds_store_b128 v0, v[8:11]
	ds_store_b128 v0, v[44:47] offset:272
	ds_store_b128 v0, v[48:51] offset:544
	scratch_load_b32 v0, off, off offset:128 th:TH_LOAD_LU ; 4-byte Folded Reload
	s_wait_loadcnt 0x0
	ds_store_b128 v0, v[12:15]
	ds_store_b128 v0, v[52:55] offset:272
	ds_store_b128 v0, v[144:147] offset:544
	scratch_load_b32 v0, off, off offset:132 th:TH_LOAD_LU ; 4-byte Folded Reload
	s_wait_loadcnt 0x0
	ds_store_b128 v0, v[16:19]
	ds_store_b128 v0, v[148:151] offset:272
	ds_store_b128 v0, v[152:155] offset:544
	global_wb scope:SCOPE_SE
	s_wait_dscnt 0x0
	s_barrier_signal -1
	s_barrier_wait -1
	global_inv scope:SCOPE_SE
	ds_load_b128 v[0:3], v228 offset:4080
	ds_load_b128 v[4:7], v228 offset:8160
	ds_load_b128 v[8:11], v228 offset:12240
	ds_load_b128 v[12:15], v228 offset:16320
	ds_load_b128 v[16:19], v228 offset:5440
	ds_load_b128 v[20:23], v228 offset:9520
	ds_load_b128 v[24:27], v228 offset:13600
	ds_load_b128 v[28:31], v228 offset:17680
	ds_load_b128 v[40:43], v228 offset:2720
	ds_load_b128 v[44:47], v228 offset:6800
	ds_load_b128 v[48:51], v228 offset:10880
	ds_load_b128 v[52:55], v228 offset:14960
	ds_load_b128 v[144:147], v228 offset:19040
	s_clause 0x5
	scratch_load_b128 v[96:99], off, off offset:96 th:TH_LOAD_LU
	scratch_load_b128 v[104:107], off, off offset:244 th:TH_LOAD_LU
	;; [unrolled: 1-line block ×6, first 2 shown]
	s_wait_loadcnt_dscnt 0x50c
	v_mul_f64_e32 v[32:33], v[98:99], v[2:3]
	v_mul_f64_e32 v[34:35], v[98:99], v[0:1]
	scratch_load_b128 v[98:101], off, off offset:112 th:TH_LOAD_LU ; 16-byte Folded Reload
	s_wait_loadcnt_dscnt 0x50a
	v_mul_f64_e32 v[38:39], v[106:107], v[10:11]
	v_mul_f64_e32 v[62:63], v[106:107], v[8:9]
	scratch_load_b128 v[106:109], off, off offset:264 th:TH_LOAD_LU ; 16-byte Folded Reload
	s_wait_loadcnt_dscnt 0x208
	v_mul_f64_e32 v[64:65], v[112:113], v[18:19]
	v_mul_f64_e32 v[66:67], v[112:113], v[16:17]
	scratch_load_b128 v[112:115], off, off offset:296 th:TH_LOAD_LU ; 16-byte Folded Reload
	s_wait_dscnt 0x6
	v_mul_f64_e32 v[70:71], v[118:119], v[26:27]
	v_mul_f64_e32 v[76:77], v[118:119], v[24:25]
	scratch_load_b128 v[118:121], off, off offset:348 th:TH_LOAD_LU ; 16-byte Folded Reload
	s_wait_dscnt 0x3
	v_mul_f64_e32 v[80:81], v[124:125], v[46:47]
	v_mul_f64_e32 v[82:83], v[124:125], v[44:45]
	scratch_load_b128 v[124:127], off, off offset:384 th:TH_LOAD_LU ; 16-byte Folded Reload
	s_wait_dscnt 0x1
	v_mul_f64_e32 v[86:87], v[130:131], v[54:55]
	v_mul_f64_e32 v[92:93], v[130:131], v[52:53]
	v_fma_f64 v[32:33], v[96:97], v[0:1], v[32:33]
	v_fma_f64 v[34:35], v[96:97], v[2:3], -v[34:35]
	ds_load_b128 v[0:3], v228
	v_fma_f64 v[8:9], v[104:105], v[8:9], v[38:39]
	v_fma_f64 v[10:11], v[104:105], v[10:11], -v[62:63]
	v_fma_f64 v[16:17], v[110:111], v[16:17], v[64:65]
	v_fma_f64 v[18:19], v[110:111], v[18:19], -v[66:67]
	;; [unrolled: 2-line block ×5, first 2 shown]
	s_delay_alu instid0(VALU_DEP_3)
	v_add_f64_e32 v[128:129], v[42:43], v[46:47]
	s_wait_loadcnt 0x4
	v_mul_f64_e32 v[36:37], v[100:101], v[6:7]
	v_mul_f64_e32 v[56:57], v[100:101], v[4:5]
	scratch_load_b128 v[100:103], off, off offset:228 th:TH_LOAD_LU ; 16-byte Folded Reload
	s_wait_loadcnt 0x4
	v_mul_f64_e32 v[68:69], v[108:109], v[22:23]
	v_mul_f64_e32 v[72:73], v[108:109], v[20:21]
	s_wait_loadcnt 0x3
	v_mul_f64_e32 v[78:79], v[114:115], v[28:29]
	v_mul_f64_e32 v[74:75], v[114:115], v[30:31]
	;; [unrolled: 3-line block ×3, first 2 shown]
	s_wait_loadcnt_dscnt 0x101
	v_mul_f64_e32 v[90:91], v[126:127], v[146:147]
	v_mul_f64_e32 v[94:95], v[126:127], v[144:145]
	v_add_f64_e32 v[126:127], v[40:41], v[44:45]
	v_fma_f64 v[36:37], v[98:99], v[4:5], v[36:37]
	v_fma_f64 v[38:39], v[98:99], v[6:7], -v[56:57]
	ds_load_b128 v[4:7], v228 offset:1360
	v_fma_f64 v[20:21], v[106:107], v[20:21], v[68:69]
	v_fma_f64 v[22:23], v[106:107], v[22:23], -v[72:73]
	s_wait_dscnt 0x1
	v_add_f64_e32 v[62:63], v[0:1], v[32:33]
	global_wb scope:SCOPE_SE
	s_wait_loadcnt_dscnt 0x0
	s_barrier_signal -1
	s_barrier_wait -1
	global_inv scope:SCOPE_SE
	v_fma_f64 v[48:49], v[118:119], v[48:49], v[84:85]
	v_fma_f64 v[30:31], v[112:113], v[30:31], -v[78:79]
	v_fma_f64 v[56:57], v[124:125], v[144:145], v[90:91]
	v_fma_f64 v[50:51], v[118:119], v[50:51], -v[88:89]
	v_fma_f64 v[28:29], v[112:113], v[28:29], v[74:75]
	v_add_f64_e32 v[90:91], v[2:3], v[34:35]
	v_add_f64_e32 v[108:109], v[4:5], v[16:17]
	;; [unrolled: 1-line block ×3, first 2 shown]
	v_add_f64_e64 v[74:75], v[32:33], -v[36:37]
	v_add_f64_e32 v[68:69], v[38:39], v[10:11]
	v_add_f64_e64 v[70:71], v[38:39], -v[10:11]
	v_add_f64_e32 v[76:77], v[20:21], v[24:25]
	;; [unrolled: 2-line block ×3, first 2 shown]
	v_add_f64_e64 v[96:97], v[36:37], -v[8:9]
	v_add_f64_e64 v[112:113], v[22:23], -v[26:27]
	;; [unrolled: 1-line block ×5, first 2 shown]
	v_add_f64_e32 v[92:93], v[48:49], v[52:53]
	v_add_f64_e32 v[88:89], v[18:19], v[30:31]
	;; [unrolled: 1-line block ×3, first 2 shown]
	v_add_f64_e64 v[110:111], v[18:19], -v[30:31]
	v_add_f64_e64 v[18:19], v[22:23], -v[18:19]
	;; [unrolled: 1-line block ×4, first 2 shown]
	v_add_f64_e32 v[80:81], v[16:17], v[28:29]
	v_add_f64_e64 v[116:117], v[28:29], -v[24:25]
	v_add_f64_e64 v[120:121], v[24:25], -v[28:29]
	v_add_f64_e64 v[138:139], v[46:47], -v[50:51]
	v_add_f64_e64 v[16:17], v[16:17], -v[28:29]
	v_add_f64_e32 v[22:23], v[122:123], v[22:23]
	v_fma_f64 v[68:69], v[68:69], -0.5, v[2:3]
	v_fma_f64 v[76:77], v[76:77], -0.5, v[4:5]
	;; [unrolled: 1-line block ×6, first 2 shown]
	v_add_f64_e64 v[88:89], v[56:57], -v[52:53]
	v_fma_f64 v[4:5], v[80:81], -0.5, v[4:5]
	v_add_f64_e64 v[80:81], v[50:51], -v[54:55]
	v_add_f64_e32 v[114:115], v[114:115], v[116:117]
	v_add_f64_e32 v[116:117], v[118:119], v[120:121]
	v_fma_f64 v[144:145], v[136:137], s[14:15], v[98:99]
	v_fma_f64 v[98:99], v[136:137], s[10:11], v[98:99]
	v_add_f64_e32 v[88:89], v[134:135], v[88:89]
	v_mul_f64_e32 v[58:59], v[102:103], v[14:15]
	v_mul_f64_e32 v[60:61], v[102:103], v[12:13]
	v_add_f64_e64 v[102:103], v[34:35], -v[38:39]
	s_delay_alu instid0(VALU_DEP_3) | instskip(NEXT) | instid1(VALU_DEP_3)
	v_fma_f64 v[12:13], v[100:101], v[12:13], v[58:59]
	v_fma_f64 v[14:15], v[100:101], v[14:15], -v[60:61]
	v_fma_f64 v[58:59], v[124:125], v[146:147], -v[94:95]
	v_add_f64_e32 v[60:61], v[36:37], v[8:9]
	v_add_f64_e32 v[94:95], v[44:45], v[56:57]
	v_add_f64_e64 v[124:125], v[20:21], -v[24:25]
	v_add_f64_e64 v[44:45], v[48:49], -v[44:45]
	v_add_f64_e32 v[36:37], v[62:63], v[36:37]
	v_add_f64_e32 v[20:21], v[108:109], v[20:21]
	v_fma_f64 v[108:109], v[16:17], s[14:15], v[84:85]
	v_fma_f64 v[84:85], v[16:17], s[10:11], v[84:85]
	v_add_f64_e32 v[64:65], v[32:33], v[12:13]
	v_add_f64_e32 v[72:73], v[34:35], v[14:15]
	v_add_f64_e64 v[78:79], v[12:13], -v[8:9]
	v_add_f64_e64 v[86:87], v[8:9], -v[12:13]
	v_add_f64_e32 v[100:101], v[46:47], v[58:59]
	v_fma_f64 v[60:61], v[60:61], -0.5, v[0:1]
	v_fma_f64 v[40:41], v[94:95], -0.5, v[40:41]
	v_add_f64_e64 v[94:95], v[48:49], -v[52:53]
	v_add_f64_e32 v[48:49], v[126:127], v[48:49]
	v_add_f64_e64 v[66:67], v[34:35], -v[14:15]
	v_add_f64_e32 v[8:9], v[36:37], v[8:9]
	v_add_f64_e64 v[32:33], v[32:33], -v[12:13]
	v_add_f64_e64 v[104:105], v[14:15], -v[10:11]
	;; [unrolled: 1-line block ×3, first 2 shown]
	v_add_f64_e32 v[38:39], v[90:91], v[38:39]
	v_add_f64_e64 v[132:133], v[46:47], -v[58:59]
	v_add_f64_e64 v[46:47], v[50:51], -v[46:47]
	;; [unrolled: 1-line block ×4, first 2 shown]
	v_add_f64_e32 v[50:51], v[128:129], v[50:51]
	v_fma_f64 v[122:123], v[124:125], s[10:11], v[6:7]
	v_fma_f64 v[6:7], v[124:125], s[14:15], v[6:7]
	v_add_f64_e64 v[140:141], v[58:59], -v[54:55]
	v_fma_f64 v[0:1], v[64:65], -0.5, v[0:1]
	v_fma_f64 v[2:3], v[72:73], -0.5, v[2:3]
	v_add_f64_e64 v[72:73], v[26:27], -v[30:31]
	v_add_f64_e32 v[62:63], v[74:75], v[78:79]
	v_fma_f64 v[42:43], v[100:101], -0.5, v[42:43]
	v_add_f64_e64 v[100:101], v[52:53], -v[56:57]
	v_add_f64_e32 v[74:75], v[82:83], v[86:87]
	v_add_f64_e64 v[64:65], v[30:31], -v[26:27]
	v_fma_f64 v[128:129], v[80:81], s[14:15], v[40:41]
	v_fma_f64 v[82:83], v[66:67], s[10:11], v[60:61]
	;; [unrolled: 1-line block ×4, first 2 shown]
	v_add_f64_e32 v[78:79], v[102:103], v[104:105]
	v_fma_f64 v[68:69], v[32:33], s[10:11], v[68:69]
	v_add_f64_e32 v[10:11], v[38:39], v[10:11]
	v_fma_f64 v[104:105], v[110:111], s[10:11], v[76:77]
	v_fma_f64 v[76:77], v[110:111], s[14:15], v[76:77]
	v_add_f64_e32 v[120:121], v[46:47], v[142:143]
	v_add_f64_e32 v[34:35], v[34:35], v[106:107]
	v_fma_f64 v[106:107], v[112:113], s[14:15], v[4:5]
	v_fma_f64 v[4:5], v[112:113], s[10:11], v[4:5]
	;; [unrolled: 1-line block ×5, first 2 shown]
	v_add_f64_e32 v[118:119], v[138:139], v[140:141]
	v_fma_f64 v[86:87], v[70:71], s[14:15], v[0:1]
	v_fma_f64 v[0:1], v[70:71], s[10:11], v[0:1]
	v_add_f64_e32 v[72:73], v[18:19], v[72:73]
	v_add_f64_e32 v[18:19], v[20:21], v[24:25]
	;; [unrolled: 1-line block ×5, first 2 shown]
	v_fma_f64 v[102:103], v[96:97], s[10:11], v[2:3]
	v_fma_f64 v[2:3], v[96:97], s[14:15], v[2:3]
	;; [unrolled: 1-line block ×3, first 2 shown]
	v_add_f64_e32 v[24:25], v[50:51], v[54:55]
	s_wait_alu 0xfffe
	v_fma_f64 v[46:47], v[96:97], s[2:3], v[90:91]
	v_fma_f64 v[36:37], v[70:71], s[2:3], v[60:61]
	;; [unrolled: 1-line block ×3, first 2 shown]
	v_add_f64_e32 v[64:65], v[130:131], v[64:65]
	v_fma_f64 v[52:53], v[112:113], s[0:1], v[104:105]
	v_fma_f64 v[54:55], v[112:113], s[2:3], v[76:77]
	;; [unrolled: 1-line block ×16, first 2 shown]
	v_add_f64_e32 v[0:1], v[8:9], v[12:13]
	v_fma_f64 v[66:67], v[110:111], s[2:3], v[4:5]
	v_add_f64_e32 v[6:7], v[20:21], v[30:31]
	v_add_f64_e32 v[8:9], v[22:23], v[56:57]
	scratch_load_b32 v56, off, off offset:380 th:TH_LOAD_LU ; 4-byte Folded Reload
	v_fma_f64 v[50:51], v[32:33], s[2:3], v[102:103]
	v_fma_f64 v[32:33], v[32:33], s[0:1], v[2:3]
	v_add_f64_e32 v[2:3], v[10:11], v[14:15]
	v_fma_f64 v[12:13], v[62:63], s[16:17], v[26:27]
	v_fma_f64 v[14:15], v[78:79], s[16:17], v[46:47]
	v_add_f64_e32 v[10:11], v[24:25], v[58:59]
	v_add_f64_e32 v[4:5], v[18:19], v[28:29]
	v_fma_f64 v[16:17], v[62:63], s[16:17], v[36:37]
	v_fma_f64 v[18:19], v[78:79], s[16:17], v[48:49]
	;; [unrolled: 1-line block ×22, first 2 shown]
	s_wait_loadcnt 0x0
	ds_store_b128 v56, v[0:3]
	ds_store_b128 v56, v[12:15] offset:816
	ds_store_b128 v56, v[20:23] offset:1632
	;; [unrolled: 1-line block ×4, first 2 shown]
	v_fma_f64 v[52:53], v[100:101], s[16:17], v[86:87]
	v_fma_f64 v[54:55], v[120:121], s[16:17], v[96:97]
	;; [unrolled: 1-line block ×3, first 2 shown]
	scratch_load_b32 v0, off, off offset:344 th:TH_LOAD_LU ; 4-byte Folded Reload
	s_wait_loadcnt 0x0
	ds_store_b128 v0, v[4:7]
	ds_store_b128 v0, v[28:31] offset:816
	ds_store_b128 v0, v[36:39] offset:1632
	;; [unrolled: 1-line block ×4, first 2 shown]
	scratch_load_b32 v0, off, off offset:260 th:TH_LOAD_LU ; 4-byte Folded Reload
	s_wait_loadcnt 0x0
	ds_store_b128 v0, v[8:11]
	ds_store_b128 v0, v[44:47] offset:816
	ds_store_b128 v0, v[52:55] offset:1632
	;; [unrolled: 1-line block ×4, first 2 shown]
	global_wb scope:SCOPE_SE
	s_wait_dscnt 0x0
	s_barrier_signal -1
	s_barrier_wait -1
	global_inv scope:SCOPE_SE
	ds_load_b128 v[0:3], v228 offset:4080
	ds_load_b128 v[4:7], v228 offset:8160
	;; [unrolled: 1-line block ×13, first 2 shown]
	s_clause 0x6
	scratch_load_b128 v[100:103], off, off offset:212 th:TH_LOAD_LU
	scratch_load_b128 v[106:109], off, off offset:420 th:TH_LOAD_LU
	;; [unrolled: 1-line block ×7, first 2 shown]
	s_wait_loadcnt_dscnt 0x60c
	v_mul_f64_e32 v[52:53], v[102:103], v[2:3]
	v_mul_f64_e32 v[54:55], v[102:103], v[0:1]
	scratch_load_b128 v[102:105], off, off offset:328 th:TH_LOAD_LU ; 16-byte Folded Reload
	s_wait_loadcnt_dscnt 0x60a
	v_mul_f64_e32 v[58:59], v[108:109], v[10:11]
	v_mul_f64_e32 v[66:67], v[108:109], v[8:9]
	s_wait_loadcnt_dscnt 0x109
	v_mul_f64_e32 v[62:63], v[112:113], v[14:15]
	v_mul_f64_e32 v[64:65], v[112:113], v[12:13]
	scratch_load_b128 v[112:115], off, off offset:452 th:TH_LOAD_LU ; 16-byte Folded Reload
	s_wait_dscnt 0x8
	v_mul_f64_e32 v[68:69], v[118:119], v[18:19]
	v_mul_f64_e32 v[70:71], v[118:119], v[16:17]
	scratch_load_b128 v[118:121], off, off offset:484 th:TH_LOAD_LU ; 16-byte Folded Reload
	s_wait_dscnt 0x6
	;; [unrolled: 4-line block ×4, first 2 shown]
	v_mul_f64_e32 v[96:97], v[136:137], v[44:45]
	v_mul_f64_e32 v[90:91], v[136:137], v[46:47]
	v_fma_f64 v[52:53], v[100:101], v[0:1], v[52:53]
	v_fma_f64 v[54:55], v[100:101], v[2:3], -v[54:55]
	ds_load_b128 v[0:3], v228
	v_fma_f64 v[8:9], v[106:107], v[8:9], v[58:59]
	v_fma_f64 v[10:11], v[106:107], v[10:11], -v[66:67]
	v_fma_f64 v[12:13], v[110:111], v[12:13], v[62:63]
	v_fma_f64 v[14:15], v[110:111], v[14:15], -v[64:65]
	;; [unrolled: 2-line block ×5, first 2 shown]
	v_fma_f64 v[46:47], v[134:135], v[46:47], -v[96:97]
	v_fma_f64 v[44:45], v[134:135], v[44:45], v[90:91]
	v_add_f64_e64 v[86:87], v[8:9], -v[12:13]
	v_add_f64_e64 v[66:67], v[54:55], -v[14:15]
	;; [unrolled: 1-line block ×3, first 2 shown]
	v_add_f64_e32 v[64:65], v[52:53], v[12:13]
	v_add_f64_e32 v[128:129], v[34:35], v[38:39]
	s_wait_loadcnt 0x4
	v_mul_f64_e32 v[56:57], v[104:105], v[6:7]
	v_mul_f64_e32 v[60:61], v[104:105], v[4:5]
	v_add_f64_e64 v[104:105], v[14:15], -v[10:11]
	s_wait_loadcnt 0x3
	v_mul_f64_e32 v[72:73], v[114:115], v[22:23]
	v_mul_f64_e32 v[76:77], v[114:115], v[20:21]
	s_wait_loadcnt 0x2
	v_mul_f64_e32 v[78:79], v[120:121], v[30:31]
	v_mul_f64_e32 v[82:83], v[120:121], v[28:29]
	;; [unrolled: 3-line block ×3, first 2 shown]
	v_add_f64_e32 v[126:127], v[32:33], v[36:37]
	s_wait_loadcnt_dscnt 0x1
	v_mul_f64_e32 v[98:99], v[132:133], v[48:49]
	v_mul_f64_e32 v[94:95], v[132:133], v[50:51]
	v_fma_f64 v[56:57], v[102:103], v[4:5], v[56:57]
	v_fma_f64 v[58:59], v[102:103], v[6:7], -v[60:61]
	ds_load_b128 v[4:7], v228 offset:1360
	s_wait_dscnt 0x1
	v_add_f64_e32 v[62:63], v[0:1], v[52:53]
	v_add_f64_e32 v[90:91], v[2:3], v[54:55]
	v_fma_f64 v[20:21], v[112:113], v[20:21], v[72:73]
	v_fma_f64 v[22:23], v[112:113], v[22:23], -v[76:77]
	v_add_f64_e32 v[72:73], v[54:55], v[14:15]
	v_fma_f64 v[28:29], v[118:119], v[28:29], v[78:79]
	v_fma_f64 v[30:31], v[118:119], v[30:31], -v[82:83]
	v_add_f64_e64 v[78:79], v[12:13], -v[8:9]
	v_fma_f64 v[42:43], v[124:125], v[42:43], -v[92:93]
	v_fma_f64 v[40:41], v[124:125], v[40:41], v[88:89]
	v_fma_f64 v[50:51], v[130:131], v[50:51], -v[98:99]
	v_fma_f64 v[48:49], v[130:131], v[48:49], v[94:95]
	s_wait_dscnt 0x0
	v_add_f64_e32 v[108:109], v[4:5], v[16:17]
	v_add_f64_e32 v[122:123], v[6:7], v[18:19]
	v_add_f64_e32 v[60:61], v[56:57], v[8:9]
	v_add_f64_e64 v[74:75], v[52:53], -v[56:57]
	v_add_f64_e64 v[82:83], v[56:57], -v[52:53]
	;; [unrolled: 1-line block ×4, first 2 shown]
	v_add_f64_e32 v[68:69], v[58:59], v[10:11]
	v_add_f64_e64 v[70:71], v[58:59], -v[10:11]
	v_add_f64_e64 v[96:97], v[56:57], -v[8:9]
	v_add_f64_e32 v[56:57], v[62:63], v[56:57]
	v_add_f64_e32 v[58:59], v[90:91], v[58:59]
	v_add_f64_e64 v[52:53], v[52:53], -v[12:13]
	v_add_f64_e32 v[76:77], v[20:21], v[24:25]
	v_add_f64_e32 v[80:81], v[16:17], v[28:29]
	;; [unrolled: 1-line block ×6, first 2 shown]
	v_add_f64_e64 v[112:113], v[22:23], -v[26:27]
	v_add_f64_e32 v[94:95], v[36:37], v[48:49]
	v_add_f64_e64 v[110:111], v[18:19], -v[30:31]
	v_add_f64_e64 v[114:115], v[16:17], -v[20:21]
	;; [unrolled: 1-line block ×12, first 2 shown]
	v_add_f64_e32 v[20:21], v[108:109], v[20:21]
	v_add_f64_e32 v[22:23], v[122:123], v[22:23]
	;; [unrolled: 1-line block ×3, first 2 shown]
	v_add_f64_e64 v[132:133], v[38:39], -v[50:51]
	v_add_f64_e64 v[138:139], v[38:39], -v[42:43]
	;; [unrolled: 1-line block ×4, first 2 shown]
	v_fma_f64 v[60:61], v[60:61], -0.5, v[0:1]
	v_add_f64_e32 v[62:63], v[74:75], v[78:79]
	v_add_f64_e32 v[74:75], v[82:83], v[86:87]
	;; [unrolled: 1-line block ×4, first 2 shown]
	v_fma_f64 v[68:69], v[68:69], -0.5, v[2:3]
	v_fma_f64 v[2:3], v[72:73], -0.5, v[2:3]
	v_add_f64_e64 v[72:73], v[26:27], -v[30:31]
	v_fma_f64 v[0:1], v[64:65], -0.5, v[0:1]
	v_add_f64_e64 v[64:65], v[30:31], -v[26:27]
	v_add_f64_e32 v[10:11], v[58:59], v[10:11]
	v_add_f64_e64 v[140:141], v[50:51], -v[46:47]
	v_add_f64_e32 v[8:9], v[56:57], v[8:9]
	v_fma_f64 v[76:77], v[76:77], -0.5, v[4:5]
	v_fma_f64 v[4:5], v[80:81], -0.5, v[4:5]
	v_fma_f64 v[84:85], v[84:85], -0.5, v[6:7]
	v_fma_f64 v[6:7], v[88:89], -0.5, v[6:7]
	v_fma_f64 v[98:99], v[98:99], -0.5, v[34:35]
	v_fma_f64 v[34:35], v[100:101], -0.5, v[34:35]
	v_add_f64_e64 v[100:101], v[44:45], -v[48:49]
	v_add_f64_e64 v[80:81], v[42:43], -v[46:47]
	v_add_f64_e32 v[114:115], v[114:115], v[116:117]
	v_add_f64_e32 v[42:43], v[128:129], v[42:43]
	;; [unrolled: 1-line block ×3, first 2 shown]
	v_add_f64_e64 v[88:89], v[48:49], -v[44:45]
	v_fma_f64 v[92:93], v[92:93], -0.5, v[32:33]
	v_fma_f64 v[32:33], v[94:95], -0.5, v[32:33]
	v_add_f64_e64 v[94:95], v[40:41], -v[44:45]
	v_add_f64_e32 v[40:41], v[126:127], v[40:41]
	v_add_f64_e32 v[120:121], v[38:39], v[142:143]
	v_fma_f64 v[82:83], v[66:67], s[10:11], v[60:61]
	v_fma_f64 v[60:61], v[66:67], s[14:15], v[60:61]
	;; [unrolled: 1-line block ×4, first 2 shown]
	v_add_f64_e32 v[72:73], v[18:19], v[72:73]
	v_add_f64_e32 v[18:19], v[20:21], v[24:25]
	;; [unrolled: 1-line block ×3, first 2 shown]
	v_fma_f64 v[86:87], v[70:71], s[14:15], v[0:1]
	v_fma_f64 v[0:1], v[70:71], s[10:11], v[0:1]
	;; [unrolled: 1-line block ×4, first 2 shown]
	v_add_f64_e32 v[64:65], v[130:131], v[64:65]
	v_add_f64_e32 v[118:119], v[138:139], v[140:141]
	v_fma_f64 v[106:107], v[112:113], s[14:15], v[4:5]
	v_fma_f64 v[104:105], v[110:111], s[10:11], v[76:77]
	v_fma_f64 v[76:77], v[110:111], s[14:15], v[76:77]
	v_fma_f64 v[122:123], v[124:125], s[10:11], v[6:7]
	v_fma_f64 v[6:7], v[124:125], s[14:15], v[6:7]
	v_add_f64_e32 v[100:101], v[36:37], v[100:101]
	v_fma_f64 v[108:109], v[16:17], s[14:15], v[84:85]
	v_fma_f64 v[84:85], v[16:17], s[10:11], v[84:85]
	;; [unrolled: 1-line block ×5, first 2 shown]
	v_add_f64_e32 v[24:25], v[42:43], v[46:47]
	v_add_f64_e32 v[88:89], v[134:135], v[88:89]
	v_fma_f64 v[126:127], v[132:133], s[10:11], v[92:93]
	v_fma_f64 v[92:93], v[132:133], s[14:15], v[92:93]
	;; [unrolled: 1-line block ×8, first 2 shown]
	v_add_f64_e32 v[22:23], v[40:41], v[44:45]
	v_fma_f64 v[42:43], v[96:97], s[2:3], v[90:91]
	v_fma_f64 v[46:47], v[52:53], s[2:3], v[102:103]
	;; [unrolled: 1-line block ×6, first 2 shown]
	v_add_f64_e32 v[0:1], v[8:9], v[12:13]
	v_add_f64_e32 v[2:3], v[10:11], v[14:15]
	v_fma_f64 v[60:61], v[110:111], s[0:1], v[106:107]
	v_fma_f64 v[56:57], v[112:113], s[0:1], v[104:105]
	;; [unrolled: 1-line block ×5, first 2 shown]
	v_add_f64_e32 v[6:7], v[20:21], v[30:31]
	v_fma_f64 v[68:69], v[124:125], s[2:3], v[108:109]
	v_fma_f64 v[70:71], v[124:125], s[0:1], v[84:85]
	v_fma_f64 v[66:67], v[110:111], s[2:3], v[4:5]
	v_add_f64_e32 v[4:5], v[18:19], v[28:29]
	v_add_f64_e32 v[10:11], v[24:25], v[50:51]
	v_fma_f64 v[84:85], v[80:81], s[0:1], v[126:127]
	v_fma_f64 v[80:81], v[80:81], s[2:3], v[92:93]
	;; [unrolled: 1-line block ×9, first 2 shown]
	v_add_f64_e32 v[8:9], v[22:23], v[48:49]
	v_fma_f64 v[12:13], v[62:63], s[16:17], v[26:27]
	v_fma_f64 v[14:15], v[78:79], s[16:17], v[42:43]
	;; [unrolled: 1-line block ×8, first 2 shown]
	scratch_load_b32 v60, off, off offset:416 ; 4-byte Folded Reload
	v_fma_f64 v[28:29], v[114:115], s[16:17], v[56:57]
	v_fma_f64 v[38:39], v[72:73], s[16:17], v[76:77]
	;; [unrolled: 1-line block ×15, first 2 shown]
	s_wait_loadcnt 0x0
	ds_store_b128 v60, v[0:3]
	ds_store_b128 v234, v[4:7] offset:1360
	ds_store_b128 v234, v[8:11] offset:2720
	ds_store_b128 v234, v[12:15] offset:4080
	ds_store_b128 v234, v[20:23] offset:8160
	ds_store_b128 v234, v[24:27] offset:12240
	ds_store_b128 v234, v[16:19] offset:16320
	ds_store_b128 v205, v[28:31] offset:4080
	ds_store_b128 v205, v[36:39] offset:8160
	ds_store_b128 v205, v[40:43] offset:12240
	ds_store_b128 v205, v[32:35] offset:16320
	ds_store_b128 v204, v[44:47] offset:4080
	ds_store_b128 v204, v[52:55] offset:8160
	ds_store_b128 v204, v[56:59] offset:12240
	ds_store_b128 v204, v[48:51] offset:16320
	global_wb scope:SCOPE_SE
	s_wait_dscnt 0x0
	s_barrier_signal -1
	s_barrier_wait -1
	global_inv scope:SCOPE_SE
	s_and_b32 exec_lo, exec_lo, vcc_lo
	s_cbranch_execz .LBB0_15
; %bb.14:
	global_load_b128 v[0:3], v255, s[8:9]
	ds_load_b128 v[4:7], v60
	ds_load_b128 v[8:11], v234 offset:1200
	s_mov_b32 s0, 0xe68019b3
	s_mov_b32 s1, 0x3f49b34c
	s_mul_u64 s[2:3], s[4:5], 0x4b0
	s_wait_loadcnt_dscnt 0x1
	v_mul_f64_e32 v[12:13], v[6:7], v[2:3]
	v_mul_f64_e32 v[2:3], v[4:5], v[2:3]
	s_delay_alu instid0(VALU_DEP_2) | instskip(NEXT) | instid1(VALU_DEP_2)
	v_fma_f64 v[4:5], v[4:5], v[0:1], v[12:13]
	v_fma_f64 v[2:3], v[0:1], v[6:7], -v[2:3]
	v_mad_co_u64_u32 v[6:7], null, s6, v221, 0
	v_mad_co_u64_u32 v[12:13], null, s4, v226, 0
	s_wait_alu 0xfffe
	s_delay_alu instid0(VALU_DEP_4) | instskip(NEXT) | instid1(VALU_DEP_4)
	v_mul_f64_e32 v[0:1], s[0:1], v[4:5]
	v_mul_f64_e32 v[2:3], s[0:1], v[2:3]
	s_delay_alu instid0(VALU_DEP_3) | instskip(NEXT) | instid1(VALU_DEP_1)
	v_dual_mov_b32 v4, v7 :: v_dual_mov_b32 v5, v13
	v_mad_co_u64_u32 v[13:14], null, s7, v221, v[4:5]
	v_mad_co_u64_u32 v[4:5], null, s5, v226, v[5:6]
	s_delay_alu instid0(VALU_DEP_2) | instskip(NEXT) | instid1(VALU_DEP_2)
	v_mov_b32_e32 v7, v13
	v_mov_b32_e32 v13, v4
	s_delay_alu instid0(VALU_DEP_2) | instskip(NEXT) | instid1(VALU_DEP_2)
	v_lshlrev_b64_e32 v[4:5], 4, v[6:7]
	v_lshlrev_b64_e32 v[6:7], 4, v[12:13]
	s_delay_alu instid0(VALU_DEP_2) | instskip(NEXT) | instid1(VALU_DEP_3)
	v_add_co_u32 v4, vcc_lo, s12, v4
	v_add_co_ci_u32_e32 v5, vcc_lo, s13, v5, vcc_lo
	s_delay_alu instid0(VALU_DEP_2) | instskip(SKIP_1) | instid1(VALU_DEP_2)
	v_add_co_u32 v4, vcc_lo, v4, v6
	s_wait_alu 0xfffd
	v_add_co_ci_u32_e32 v5, vcc_lo, v5, v7, vcc_lo
	s_delay_alu instid0(VALU_DEP_2)
	v_add_co_u32 v12, vcc_lo, v4, s2
	global_store_b128 v[4:5], v[0:3], off
	global_load_b128 v[0:3], v255, s[8:9] offset:1200
	s_wait_alu 0xfffd
	v_add_co_ci_u32_e32 v13, vcc_lo, s3, v5, vcc_lo
	s_wait_loadcnt_dscnt 0x0
	v_mul_f64_e32 v[6:7], v[10:11], v[2:3]
	v_mul_f64_e32 v[2:3], v[8:9], v[2:3]
	s_delay_alu instid0(VALU_DEP_2) | instskip(NEXT) | instid1(VALU_DEP_2)
	v_fma_f64 v[6:7], v[8:9], v[0:1], v[6:7]
	v_fma_f64 v[2:3], v[0:1], v[10:11], -v[2:3]
	s_delay_alu instid0(VALU_DEP_2) | instskip(NEXT) | instid1(VALU_DEP_2)
	v_mul_f64_e32 v[0:1], s[0:1], v[6:7]
	v_mul_f64_e32 v[2:3], s[0:1], v[2:3]
	global_store_b128 v[12:13], v[0:3], off
	global_load_b128 v[0:3], v255, s[8:9] offset:2400
	ds_load_b128 v[4:7], v234 offset:2400
	ds_load_b128 v[8:11], v234 offset:3600
	s_wait_loadcnt_dscnt 0x1
	v_mul_f64_e32 v[14:15], v[6:7], v[2:3]
	v_mul_f64_e32 v[2:3], v[4:5], v[2:3]
	s_delay_alu instid0(VALU_DEP_2) | instskip(NEXT) | instid1(VALU_DEP_2)
	v_fma_f64 v[4:5], v[4:5], v[0:1], v[14:15]
	v_fma_f64 v[2:3], v[0:1], v[6:7], -v[2:3]
	s_delay_alu instid0(VALU_DEP_2) | instskip(NEXT) | instid1(VALU_DEP_2)
	v_mul_f64_e32 v[0:1], s[0:1], v[4:5]
	v_mul_f64_e32 v[2:3], s[0:1], v[2:3]
	v_add_co_u32 v4, vcc_lo, v12, s2
	s_wait_alu 0xfffd
	v_add_co_ci_u32_e32 v5, vcc_lo, s3, v13, vcc_lo
	s_delay_alu instid0(VALU_DEP_2) | instskip(SKIP_1) | instid1(VALU_DEP_2)
	v_add_co_u32 v12, vcc_lo, v4, s2
	s_wait_alu 0xfffd
	v_add_co_ci_u32_e32 v13, vcc_lo, s3, v5, vcc_lo
	global_store_b128 v[4:5], v[0:3], off
	global_load_b128 v[0:3], v255, s[8:9] offset:3600
	s_wait_loadcnt_dscnt 0x0
	v_mul_f64_e32 v[6:7], v[10:11], v[2:3]
	v_mul_f64_e32 v[2:3], v[8:9], v[2:3]
	s_delay_alu instid0(VALU_DEP_2) | instskip(NEXT) | instid1(VALU_DEP_2)
	v_fma_f64 v[6:7], v[8:9], v[0:1], v[6:7]
	v_fma_f64 v[2:3], v[0:1], v[10:11], -v[2:3]
	s_delay_alu instid0(VALU_DEP_2) | instskip(NEXT) | instid1(VALU_DEP_2)
	v_mul_f64_e32 v[0:1], s[0:1], v[6:7]
	v_mul_f64_e32 v[2:3], s[0:1], v[2:3]
	global_store_b128 v[12:13], v[0:3], off
	global_load_b128 v[0:3], v255, s[8:9] offset:4800
	ds_load_b128 v[4:7], v234 offset:4800
	ds_load_b128 v[8:11], v234 offset:6000
	s_wait_loadcnt_dscnt 0x1
	v_mul_f64_e32 v[14:15], v[6:7], v[2:3]
	v_mul_f64_e32 v[2:3], v[4:5], v[2:3]
	s_delay_alu instid0(VALU_DEP_2) | instskip(NEXT) | instid1(VALU_DEP_2)
	v_fma_f64 v[4:5], v[4:5], v[0:1], v[14:15]
	v_fma_f64 v[2:3], v[0:1], v[6:7], -v[2:3]
	s_delay_alu instid0(VALU_DEP_2) | instskip(NEXT) | instid1(VALU_DEP_2)
	v_mul_f64_e32 v[0:1], s[0:1], v[4:5]
	v_mul_f64_e32 v[2:3], s[0:1], v[2:3]
	v_add_co_u32 v4, vcc_lo, v12, s2
	s_wait_alu 0xfffd
	v_add_co_ci_u32_e32 v5, vcc_lo, s3, v13, vcc_lo
	s_delay_alu instid0(VALU_DEP_2) | instskip(SKIP_1) | instid1(VALU_DEP_2)
	v_add_co_u32 v12, vcc_lo, v4, s2
	s_wait_alu 0xfffd
	v_add_co_ci_u32_e32 v13, vcc_lo, s3, v5, vcc_lo
	global_store_b128 v[4:5], v[0:3], off
	global_load_b128 v[0:3], v255, s[8:9] offset:6000
	;; [unrolled: 31-line block ×6, first 2 shown]
	s_wait_loadcnt_dscnt 0x0
	v_mul_f64_e32 v[6:7], v[10:11], v[2:3]
	v_mul_f64_e32 v[2:3], v[8:9], v[2:3]
	s_delay_alu instid0(VALU_DEP_2) | instskip(NEXT) | instid1(VALU_DEP_2)
	v_fma_f64 v[6:7], v[8:9], v[0:1], v[6:7]
	v_fma_f64 v[2:3], v[0:1], v[10:11], -v[2:3]
	s_delay_alu instid0(VALU_DEP_2) | instskip(NEXT) | instid1(VALU_DEP_2)
	v_mul_f64_e32 v[0:1], s[0:1], v[6:7]
	v_mul_f64_e32 v[2:3], s[0:1], v[2:3]
	global_store_b128 v[12:13], v[0:3], off
	global_load_b128 v[0:3], v255, s[8:9] offset:16800
	ds_load_b128 v[4:7], v234 offset:16800
	ds_load_b128 v[8:11], v234 offset:18000
	s_wait_loadcnt_dscnt 0x1
	v_mul_f64_e32 v[14:15], v[6:7], v[2:3]
	v_mul_f64_e32 v[2:3], v[4:5], v[2:3]
	s_delay_alu instid0(VALU_DEP_2) | instskip(NEXT) | instid1(VALU_DEP_2)
	v_fma_f64 v[4:5], v[4:5], v[0:1], v[14:15]
	v_fma_f64 v[2:3], v[0:1], v[6:7], -v[2:3]
	s_delay_alu instid0(VALU_DEP_2) | instskip(NEXT) | instid1(VALU_DEP_2)
	v_mul_f64_e32 v[0:1], s[0:1], v[4:5]
	v_mul_f64_e32 v[2:3], s[0:1], v[2:3]
	v_add_co_u32 v4, vcc_lo, v12, s2
	s_wait_alu 0xfffd
	v_add_co_ci_u32_e32 v5, vcc_lo, s3, v13, vcc_lo
	global_store_b128 v[4:5], v[0:3], off
	global_load_b128 v[0:3], v255, s[8:9] offset:18000
	s_wait_loadcnt_dscnt 0x0
	v_mul_f64_e32 v[6:7], v[10:11], v[2:3]
	v_mul_f64_e32 v[2:3], v[8:9], v[2:3]
	s_delay_alu instid0(VALU_DEP_2) | instskip(NEXT) | instid1(VALU_DEP_2)
	v_fma_f64 v[6:7], v[8:9], v[0:1], v[6:7]
	v_fma_f64 v[2:3], v[0:1], v[10:11], -v[2:3]
	v_add_co_u32 v8, vcc_lo, v4, s2
	s_wait_alu 0xfffd
	v_add_co_ci_u32_e32 v9, vcc_lo, s3, v5, vcc_lo
	s_delay_alu instid0(VALU_DEP_4) | instskip(NEXT) | instid1(VALU_DEP_4)
	v_mul_f64_e32 v[0:1], s[0:1], v[6:7]
	v_mul_f64_e32 v[2:3], s[0:1], v[2:3]
	ds_load_b128 v[4:7], v234 offset:19200
	global_store_b128 v[8:9], v[0:3], off
	global_load_b128 v[0:3], v255, s[8:9] offset:19200
	s_wait_loadcnt_dscnt 0x0
	v_mul_f64_e32 v[10:11], v[6:7], v[2:3]
	v_mul_f64_e32 v[2:3], v[4:5], v[2:3]
	s_delay_alu instid0(VALU_DEP_2) | instskip(NEXT) | instid1(VALU_DEP_2)
	v_fma_f64 v[4:5], v[4:5], v[0:1], v[10:11]
	v_fma_f64 v[2:3], v[0:1], v[6:7], -v[2:3]
	s_delay_alu instid0(VALU_DEP_2) | instskip(NEXT) | instid1(VALU_DEP_2)
	v_mul_f64_e32 v[0:1], s[0:1], v[4:5]
	v_mul_f64_e32 v[2:3], s[0:1], v[2:3]
	v_add_co_u32 v4, vcc_lo, v8, s2
	s_wait_alu 0xfffd
	v_add_co_ci_u32_e32 v5, vcc_lo, s3, v9, vcc_lo
	global_store_b128 v[4:5], v[0:3], off
.LBB0_15:
	s_nop 0
	s_sendmsg sendmsg(MSG_DEALLOC_VGPRS)
	s_endpgm
	.section	.rodata,"a",@progbits
	.p2align	6, 0x0
	.amdhsa_kernel bluestein_single_back_len1275_dim1_dp_op_CI_CI
		.amdhsa_group_segment_fixed_size 61200
		.amdhsa_private_segment_fixed_size 676
		.amdhsa_kernarg_size 104
		.amdhsa_user_sgpr_count 2
		.amdhsa_user_sgpr_dispatch_ptr 0
		.amdhsa_user_sgpr_queue_ptr 0
		.amdhsa_user_sgpr_kernarg_segment_ptr 1
		.amdhsa_user_sgpr_dispatch_id 0
		.amdhsa_user_sgpr_private_segment_size 0
		.amdhsa_wavefront_size32 1
		.amdhsa_uses_dynamic_stack 0
		.amdhsa_enable_private_segment 1
		.amdhsa_system_sgpr_workgroup_id_x 1
		.amdhsa_system_sgpr_workgroup_id_y 0
		.amdhsa_system_sgpr_workgroup_id_z 0
		.amdhsa_system_sgpr_workgroup_info 0
		.amdhsa_system_vgpr_workitem_id 0
		.amdhsa_next_free_vgpr 256
		.amdhsa_next_free_sgpr 58
		.amdhsa_reserve_vcc 1
		.amdhsa_float_round_mode_32 0
		.amdhsa_float_round_mode_16_64 0
		.amdhsa_float_denorm_mode_32 3
		.amdhsa_float_denorm_mode_16_64 3
		.amdhsa_fp16_overflow 0
		.amdhsa_workgroup_processor_mode 1
		.amdhsa_memory_ordered 1
		.amdhsa_forward_progress 0
		.amdhsa_round_robin_scheduling 0
		.amdhsa_exception_fp_ieee_invalid_op 0
		.amdhsa_exception_fp_denorm_src 0
		.amdhsa_exception_fp_ieee_div_zero 0
		.amdhsa_exception_fp_ieee_overflow 0
		.amdhsa_exception_fp_ieee_underflow 0
		.amdhsa_exception_fp_ieee_inexact 0
		.amdhsa_exception_int_div_zero 0
	.end_amdhsa_kernel
	.text
.Lfunc_end0:
	.size	bluestein_single_back_len1275_dim1_dp_op_CI_CI, .Lfunc_end0-bluestein_single_back_len1275_dim1_dp_op_CI_CI
                                        ; -- End function
	.section	.AMDGPU.csdata,"",@progbits
; Kernel info:
; codeLenInByte = 27524
; NumSgprs: 60
; NumVgprs: 256
; ScratchSize: 676
; MemoryBound: 0
; FloatMode: 240
; IeeeMode: 1
; LDSByteSize: 61200 bytes/workgroup (compile time only)
; SGPRBlocks: 7
; VGPRBlocks: 31
; NumSGPRsForWavesPerEU: 60
; NumVGPRsForWavesPerEU: 256
; Occupancy: 4
; WaveLimiterHint : 1
; COMPUTE_PGM_RSRC2:SCRATCH_EN: 1
; COMPUTE_PGM_RSRC2:USER_SGPR: 2
; COMPUTE_PGM_RSRC2:TRAP_HANDLER: 0
; COMPUTE_PGM_RSRC2:TGID_X_EN: 1
; COMPUTE_PGM_RSRC2:TGID_Y_EN: 0
; COMPUTE_PGM_RSRC2:TGID_Z_EN: 0
; COMPUTE_PGM_RSRC2:TIDIG_COMP_CNT: 0
	.text
	.p2alignl 7, 3214868480
	.fill 96, 4, 3214868480
	.type	__hip_cuid_6fdf66074c102e80,@object ; @__hip_cuid_6fdf66074c102e80
	.section	.bss,"aw",@nobits
	.globl	__hip_cuid_6fdf66074c102e80
__hip_cuid_6fdf66074c102e80:
	.byte	0                               ; 0x0
	.size	__hip_cuid_6fdf66074c102e80, 1

	.ident	"AMD clang version 19.0.0git (https://github.com/RadeonOpenCompute/llvm-project roc-6.4.0 25133 c7fe45cf4b819c5991fe208aaa96edf142730f1d)"
	.section	".note.GNU-stack","",@progbits
	.addrsig
	.addrsig_sym __hip_cuid_6fdf66074c102e80
	.amdgpu_metadata
---
amdhsa.kernels:
  - .args:
      - .actual_access:  read_only
        .address_space:  global
        .offset:         0
        .size:           8
        .value_kind:     global_buffer
      - .actual_access:  read_only
        .address_space:  global
        .offset:         8
        .size:           8
        .value_kind:     global_buffer
      - .actual_access:  read_only
        .address_space:  global
        .offset:         16
        .size:           8
        .value_kind:     global_buffer
      - .actual_access:  read_only
        .address_space:  global
        .offset:         24
        .size:           8
        .value_kind:     global_buffer
      - .actual_access:  read_only
        .address_space:  global
        .offset:         32
        .size:           8
        .value_kind:     global_buffer
      - .offset:         40
        .size:           8
        .value_kind:     by_value
      - .address_space:  global
        .offset:         48
        .size:           8
        .value_kind:     global_buffer
      - .address_space:  global
        .offset:         56
        .size:           8
        .value_kind:     global_buffer
      - .address_space:  global
        .offset:         64
        .size:           8
        .value_kind:     global_buffer
      - .address_space:  global
        .offset:         72
        .size:           8
        .value_kind:     global_buffer
      - .offset:         80
        .size:           4
        .value_kind:     by_value
      - .address_space:  global
        .offset:         88
        .size:           8
        .value_kind:     global_buffer
      - .address_space:  global
        .offset:         96
        .size:           8
        .value_kind:     global_buffer
    .group_segment_fixed_size: 61200
    .kernarg_segment_align: 8
    .kernarg_segment_size: 104
    .language:       OpenCL C
    .language_version:
      - 2
      - 0
    .max_flat_workgroup_size: 255
    .name:           bluestein_single_back_len1275_dim1_dp_op_CI_CI
    .private_segment_fixed_size: 676
    .sgpr_count:     60
    .sgpr_spill_count: 0
    .symbol:         bluestein_single_back_len1275_dim1_dp_op_CI_CI.kd
    .uniform_work_group_size: 1
    .uses_dynamic_stack: false
    .vgpr_count:     256
    .vgpr_spill_count: 168
    .wavefront_size: 32
    .workgroup_processor_mode: 1
amdhsa.target:   amdgcn-amd-amdhsa--gfx1201
amdhsa.version:
  - 1
  - 2
...

	.end_amdgpu_metadata
